;; amdgpu-corpus repo=ROCm/rocFFT kind=compiled arch=gfx1201 opt=O3
	.text
	.amdgcn_target "amdgcn-amd-amdhsa--gfx1201"
	.amdhsa_code_object_version 6
	.protected	bluestein_single_fwd_len1248_dim1_sp_op_CI_CI ; -- Begin function bluestein_single_fwd_len1248_dim1_sp_op_CI_CI
	.globl	bluestein_single_fwd_len1248_dim1_sp_op_CI_CI
	.p2align	8
	.type	bluestein_single_fwd_len1248_dim1_sp_op_CI_CI,@function
bluestein_single_fwd_len1248_dim1_sp_op_CI_CI: ; @bluestein_single_fwd_len1248_dim1_sp_op_CI_CI
; %bb.0:
	s_load_b128 s[16:19], s[0:1], 0x28
	v_mul_u32_u24_e32 v1, 0x4ed, v0
	s_mov_b32 s2, exec_lo
	v_mov_b32_e32 v125, 0
	s_delay_alu instid0(VALU_DEP_2) | instskip(NEXT) | instid1(VALU_DEP_1)
	v_lshrrev_b32_e32 v1, 16, v1
	v_add_nc_u32_e32 v124, ttmp9, v1
	s_wait_kmcnt 0x0
	s_delay_alu instid0(VALU_DEP_1)
	v_cmpx_gt_u64_e64 s[16:17], v[124:125]
	s_cbranch_execz .LBB0_10
; %bb.1:
	s_clause 0x1
	s_load_b128 s[4:7], s[0:1], 0x18
	s_load_b128 s[8:11], s[0:1], 0x0
	v_mul_lo_u16 v1, v1, 52
	s_load_b64 s[0:1], s[0:1], 0x38
	s_delay_alu instid0(VALU_DEP_1) | instskip(NEXT) | instid1(VALU_DEP_1)
	v_sub_nc_u16 v8, v0, v1
	v_and_b32_e32 v208, 0xffff, v8
	s_wait_kmcnt 0x0
	s_load_b128 s[12:15], s[4:5], 0x0
	s_movk_i32 s4, 0xee20
	s_mov_b32 s5, -1
	s_wait_kmcnt 0x0
	v_mad_co_u64_u32 v[0:1], null, s14, v124, 0
	v_mad_co_u64_u32 v[2:3], null, s12, v208, 0
	s_mul_u64 s[2:3], s[12:13], 0x1380
	s_mul_u64 s[4:5], s[12:13], s[4:5]
	s_delay_alu instid0(VALU_DEP_1) | instskip(NEXT) | instid1(VALU_DEP_1)
	v_mad_co_u64_u32 v[4:5], null, s15, v124, v[1:2]
	v_mov_b32_e32 v1, v4
	s_delay_alu instid0(VALU_DEP_3) | instskip(SKIP_2) | instid1(VALU_DEP_4)
	v_mad_co_u64_u32 v[5:6], null, s13, v208, v[3:4]
	v_or_b32_e32 v4, 0x340, v208
	v_lshlrev_b32_e32 v209, 3, v208
	v_lshlrev_b64_e32 v[0:1], 3, v[0:1]
	v_and_b32_e32 v68, 1, v208
	s_clause 0x3
	global_load_b64 v[141:142], v209, s[8:9]
	global_load_b64 v[139:140], v209, s[8:9] offset:416
	global_load_b64 v[131:132], v209, s[8:9] offset:832
	global_load_b64 v[129:130], v209, s[8:9] offset:1248
	v_mov_b32_e32 v3, v5
	v_add_co_u32 v21, vcc_lo, s18, v0
	v_add_co_ci_u32_e32 v22, vcc_lo, s19, v1, vcc_lo
	s_delay_alu instid0(VALU_DEP_3)
	v_lshlrev_b64_e32 v[2:3], 3, v[2:3]
	v_mad_co_u64_u32 v[0:1], null, s12, v4, 0
	scratch_store_b32 off, v4, off          ; 4-byte Folded Spill
	global_load_b64 v[118:119], v209, s[8:9] offset:6656
	v_add_co_u32 v148, null, v208, 52
	v_add_co_u32 v2, vcc_lo, v21, v2
	s_wait_alu 0xfffd
	v_add_co_ci_u32_e32 v3, vcc_lo, v22, v3, vcc_lo
	v_add_co_u32 v153, null, 0x9c, v208
	s_delay_alu instid0(VALU_DEP_3) | instskip(SKIP_1) | instid1(VALU_DEP_3)
	v_add_co_u32 v6, vcc_lo, v2, s2
	s_wait_alu 0xfffd
	v_add_co_ci_u32_e32 v7, vcc_lo, s3, v3, vcc_lo
	v_mad_co_u64_u32 v[4:5], null, s13, v4, v[1:2]
	s_delay_alu instid0(VALU_DEP_3) | instskip(SKIP_1) | instid1(VALU_DEP_3)
	v_add_co_u32 v9, vcc_lo, v6, s4
	s_wait_alu 0xfffd
	v_add_co_ci_u32_e32 v10, vcc_lo, s5, v7, vcc_lo
	v_add_co_u32 v92, null, 0x16c, v208
	s_delay_alu instid0(VALU_DEP_3) | instskip(SKIP_1) | instid1(VALU_DEP_3)
	v_add_co_u32 v11, vcc_lo, v9, s2
	s_wait_alu 0xfffd
	v_add_co_ci_u32_e32 v12, vcc_lo, s3, v10, vcc_lo
	v_mov_b32_e32 v1, v4
	s_delay_alu instid0(VALU_DEP_3) | instskip(SKIP_1) | instid1(VALU_DEP_3)
	v_add_co_u32 v13, vcc_lo, v11, s4
	s_wait_alu 0xfffd
	v_add_co_ci_u32_e32 v14, vcc_lo, s5, v12, vcc_lo
	s_delay_alu instid0(VALU_DEP_3) | instskip(NEXT) | instid1(VALU_DEP_3)
	v_lshlrev_b64_e32 v[0:1], 3, v[0:1]
	v_add_co_u32 v15, vcc_lo, v13, s2
	s_wait_alu 0xfffd
	s_delay_alu instid0(VALU_DEP_3) | instskip(SKIP_1) | instid1(VALU_DEP_3)
	v_add_co_ci_u32_e32 v16, vcc_lo, s3, v14, vcc_lo
	v_add_co_u32 v93, null, 0x138, v208
	v_add_co_u32 v17, vcc_lo, v15, s4
	s_wait_alu 0xfffd
	s_delay_alu instid0(VALU_DEP_3) | instskip(SKIP_1) | instid1(VALU_DEP_3)
	v_add_co_ci_u32_e32 v18, vcc_lo, s5, v16, vcc_lo
	v_add_co_u32 v155, null, 0x68, v208
	v_add_co_u32 v19, vcc_lo, v17, s2
	s_wait_alu 0xfffd
	s_delay_alu instid0(VALU_DEP_3)
	v_add_co_ci_u32_e32 v20, vcc_lo, s3, v18, vcc_lo
	v_add_co_u32 v0, vcc_lo, v21, v0
	s_wait_alu 0xfffd
	v_add_co_ci_u32_e32 v1, vcc_lo, v22, v1, vcc_lo
	s_clause 0x2
	global_load_b64 v[0:1], v[0:1], off
	global_load_b64 v[4:5], v[2:3], off
	;; [unrolled: 1-line block ×3, first 2 shown]
	v_add_co_u32 v21, vcc_lo, v19, s4
	s_wait_alu 0xfffd
	v_add_co_ci_u32_e32 v22, vcc_lo, s5, v20, vcc_lo
	s_clause 0x7
	global_load_b64 v[143:144], v209, s[8:9] offset:4992
	global_load_b64 v[137:138], v209, s[8:9] offset:5408
	;; [unrolled: 1-line block ×8, first 2 shown]
	global_load_b64 v[23:24], v[9:10], off
	s_clause 0x2
	global_load_b64 v[125:126], v209, s[8:9] offset:7072
	global_load_b64 v[116:117], v209, s[8:9] offset:7488
	;; [unrolled: 1-line block ×3, first 2 shown]
	s_clause 0x1
	global_load_b64 v[25:26], v[11:12], off
	global_load_b64 v[27:28], v[13:14], off
	s_clause 0x5
	global_load_b64 v[96:97], v209, s[8:9] offset:3328
	global_load_b64 v[100:101], v209, s[8:9] offset:3744
	;; [unrolled: 1-line block ×6, first 2 shown]
	global_load_b64 v[14:15], v[15:16], off
	global_load_b64 v[16:17], v[17:18], off
	;; [unrolled: 1-line block ×3, first 2 shown]
	v_lshlrev_b32_e32 v84, 4, v148
	v_mad_co_u64_u32 v[6:7], null, 0x1a0, s12, v[21:22]
	global_load_b64 v[20:21], v[21:22], off
	v_lshlrev_b32_e32 v70, 4, v153
	v_lshlrev_b32_e32 v78, 4, v92
	;; [unrolled: 1-line block ×3, first 2 shown]
	v_add_co_u32 v95, null, 0xd0, v208
	v_mad_co_u64_u32 v[9:10], null, 0x1a0, s13, v[7:8]
	v_lshlrev_b32_e32 v77, 4, v208
	v_add_co_u32 v94, null, 0x104, v208
	v_add_co_u32 v154, null, 0x1a0, v208
	;; [unrolled: 1-line block ×5, first 2 shown]
	s_delay_alu instid0(VALU_DEP_3) | instskip(NEXT) | instid1(VALU_DEP_3)
	v_lshlrev_b32_e32 v89, 4, v151
	v_lshlrev_b32_e32 v90, 4, v152
	;; [unrolled: 1-line block ×6, first 2 shown]
	s_wait_loadcnt 0x19
	v_dual_mul_f32 v57, v1, v119 :: v_dual_mul_f32 v22, v4, v142
	v_mov_b32_e32 v7, v9
	v_add_co_u32 v9, vcc_lo, v6, s2
	s_wait_loadcnt 0x17
	v_mul_f32_e32 v59, v3, v144
	v_mul_f32_e32 v58, v2, v144
	s_wait_alu 0xfffd
	v_add_co_ci_u32_e32 v10, vcc_lo, s3, v7, vcc_lo
	v_add_co_u32 v11, vcc_lo, v9, s4
	global_load_b64 v[6:7], v[6:7], off
	s_wait_alu 0xfffd
	v_add_co_ci_u32_e32 v12, vcc_lo, s5, v10, vcc_lo
	global_load_b64 v[29:30], v[9:10], off
	v_add_co_u32 v9, vcc_lo, v11, s2
	s_wait_alu 0xfffd
	v_add_co_ci_u32_e32 v10, vcc_lo, s3, v12, vcc_lo
	global_load_b64 v[31:32], v[11:12], off
	v_add_co_u32 v11, vcc_lo, v9, s4
	;; [unrolled: 4-line block ×10, first 2 shown]
	global_load_b64 v[49:50], v[9:10], off
	s_wait_alu 0xfffd
	v_add_co_ci_u32_e32 v12, vcc_lo, s5, v10, vcc_lo
	v_add_co_u32 v9, vcc_lo, v11, s2
	v_mul_f32_e32 v61, v0, v119
	s_wait_alu 0xfffd
	s_delay_alu instid0(VALU_DEP_3)
	v_add_co_ci_u32_e32 v10, vcc_lo, s3, v12, vcc_lo
	global_load_b64 v[110:111], v209, s[8:9] offset:4576
	global_load_b64 v[51:52], v[11:12], off
	global_load_b64 v[112:113], v209, s[8:9] offset:9568
	global_load_b64 v[53:54], v[9:10], off
	v_add_nc_u32_e32 v12, 0x400, v209
	v_add_nc_u32_e32 v11, 0x1000, v209
	;; [unrolled: 1-line block ×3, first 2 shown]
	v_fma_f32 v56, v5, v141, -v22
	s_wait_loadcnt 0x13
	v_dual_mul_f32 v22, v15, v136 :: v_dual_fmac_f32 v57, v0, v118
	v_mul_f32_e32 v0, v24, v140
	v_dual_mul_f32 v55, v5, v142 :: v_dual_add_nc_u32 v76, 0x1400, v209
	v_fmac_f32_e32 v59, v2, v143
	v_fma_f32 v60, v3, v143, -v58
	v_fma_f32 v58, v1, v118, -v61
	v_dual_mul_f32 v1, v23, v140 :: v_dual_mul_f32 v2, v26, v138
	v_dual_fmac_f32 v0, v23, v139 :: v_dual_add_nc_u32 v9, 0x1c00, v209
	v_mul_f32_e32 v23, v14, v136
	v_fmac_f32_e32 v22, v14, v135
	s_wait_loadcnt 0x11
	v_mul_f32_e32 v14, v19, v134
	v_mul_f32_e32 v3, v25, v138
	v_add_nc_u32_e32 v69, 0x2000, v209
	v_dual_fmac_f32 v2, v25, v137 :: v_dual_lshlrev_b32 v207, 4, v155
	v_dual_fmac_f32 v55, v4, v141 :: v_dual_lshlrev_b32 v254, 4, v95
	v_mul_f32_e32 v4, v28, v132
	v_fma_f32 v1, v24, v139, -v1
	v_dual_mul_f32 v5, v27, v132 :: v_dual_mul_f32 v24, v17, v130
	v_mul_f32_e32 v25, v16, v130
	v_fma_f32 v23, v15, v135, -v23
	v_fmac_f32_e32 v14, v18, v133
	v_fma_f32 v3, v26, v137, -v3
	s_load_b128 s[4:7], s[6:7], 0x0
	v_dual_fmac_f32 v4, v27, v131 :: v_dual_lshlrev_b32 v253, 4, v94
	ds_store_b64 v209, v[59:60] offset:4992
	v_fma_f32 v5, v28, v131, -v5
	v_fmac_f32_e32 v24, v16, v129
	ds_store_2addr_b64 v209, v[55:56], v[0:1] offset1:52
	ds_store_2addr_b64 v11, v[2:3], v[22:23] offset0:164 offset1:216
	s_wait_loadcnt 0x10
	v_mul_f32_e32 v0, v21, v128
	v_fma_f32 v25, v17, v129, -v25
	v_mul_f32_e32 v1, v18, v134
	v_dual_mul_f32 v3, v20, v128 :: v_dual_add_nc_u32 v10, 0x1800, v209
	s_delay_alu instid0(VALU_DEP_4)
	v_fmac_f32_e32 v0, v20, v127
	ds_store_2addr_b64 v209, v[4:5], v[24:25] offset0:104 offset1:156
	v_cmp_gt_u16_e32 vcc_lo, 44, v8
	s_wait_loadcnt 0xf
	v_mul_f32_e32 v2, v7, v121
	v_mul_f32_e32 v4, v6, v121
	v_fma_f32 v15, v19, v133, -v1
	s_wait_loadcnt 0xe
	v_mul_f32_e32 v5, v29, v126
	v_fma_f32 v1, v21, v127, -v3
	v_fmac_f32_e32 v2, v6, v120
	v_fma_f32 v3, v7, v120, -v4
	v_mul_f32_e32 v4, v30, v126
	s_wait_loadcnt 0xd
	v_mul_f32_e32 v6, v32, v123
	ds_store_2addr_b64 v10, v[14:15], v[57:58] offset0:12 offset1:64
	v_fma_f32 v5, v30, v125, -v5
	ds_store_2addr_b64 v12, v[0:1], v[2:3] offset0:80 offset1:132
	v_mul_f32_e32 v1, v31, v123
	s_wait_loadcnt 0xc
	v_mul_f32_e32 v3, v33, v117
	v_mul_f32_e32 v0, v34, v117
	v_fmac_f32_e32 v4, v29, v125
	v_fmac_f32_e32 v6, v31, v122
	v_fma_f32 v7, v32, v122, -v1
	s_wait_loadcnt 0xb
	v_mul_f32_e32 v2, v36, v107
	v_mul_f32_e32 v14, v35, v107
	v_fma_f32 v1, v34, v116, -v3
	s_wait_loadcnt 0xa
	v_mul_f32_e32 v15, v37, v115
	s_delay_alu instid0(VALU_DEP_3) | instskip(SKIP_1) | instid1(VALU_DEP_3)
	v_fma_f32 v3, v36, v106, -v14
	v_mul_f32_e32 v14, v38, v115
	v_fma_f32 v15, v38, v114, -v15
	s_wait_loadcnt 0x5
	v_mul_f32_e32 v17, v47, v103
	v_mul_f32_e32 v16, v48, v103
	s_wait_loadcnt 0x4
	v_mul_f32_e32 v19, v49, v99
	v_fmac_f32_e32 v0, v33, v116
	v_mul_f32_e32 v18, v50, v99
	v_fmac_f32_e32 v16, v47, v102
	v_fma_f32 v17, v48, v102, -v17
	v_fma_f32 v19, v50, v98, -v19
	ds_store_2addr_b64 v10, v[4:5], v[0:1] offset0:116 offset1:168
	v_mul_f32_e32 v1, v39, v97
	v_fmac_f32_e32 v2, v35, v106
	s_wait_loadcnt 0x2
	v_dual_mul_f32 v0, v40, v97 :: v_dual_mul_f32 v21, v51, v111
	v_mul_f32_e32 v4, v44, v101
	v_mul_f32_e32 v5, v43, v101
	ds_store_2addr_b64 v13, v[6:7], v[2:3] offset0:56 offset1:108
	v_mul_f32_e32 v2, v42, v109
	v_mul_f32_e32 v3, v41, v109
	;; [unrolled: 1-line block ×3, first 2 shown]
	v_dual_mul_f32 v7, v45, v105 :: v_dual_mul_f32 v20, v52, v111
	s_wait_loadcnt 0x0
	v_mul_f32_e32 v22, v54, v113
	v_mul_f32_e32 v23, v53, v113
	v_fmac_f32_e32 v14, v37, v114
	v_fmac_f32_e32 v2, v41, v108
	v_fma_f32 v3, v42, v108, -v3
	v_fmac_f32_e32 v0, v39, v96
	v_fma_f32 v1, v40, v96, -v1
	;; [unrolled: 2-line block ×4, first 2 shown]
	v_fmac_f32_e32 v18, v49, v98
	v_fmac_f32_e32 v20, v51, v110
	v_fma_f32 v21, v52, v110, -v21
	v_fmac_f32_e32 v22, v53, v112
	v_fma_f32 v23, v54, v112, -v23
	ds_store_2addr_b64 v9, v[14:15], v[2:3] offset0:92 offset1:144
	ds_store_2addr_b64 v13, v[0:1], v[4:5] offset0:160 offset1:212
	;; [unrolled: 1-line block ×4, first 2 shown]
	ds_store_b64 v209, v[22:23] offset:9568
	global_wb scope:SCOPE_SE
	s_wait_storecnt_dscnt 0x0
	s_wait_kmcnt 0x0
	s_barrier_signal -1
	s_barrier_wait -1
	global_inv scope:SCOPE_SE
	ds_load_2addr_b64 v[0:3], v209 offset1:52
	ds_load_2addr_b64 v[4:7], v11 offset0:112 offset1:164
	ds_load_2addr_b64 v[14:17], v209 offset0:104 offset1:156
	;; [unrolled: 1-line block ×11, first 2 shown]
	global_wb scope:SCOPE_SE
	s_wait_dscnt 0x0
	s_barrier_signal -1
	s_barrier_wait -1
	global_inv scope:SCOPE_SE
	v_dual_sub_f32 v67, v31, v35 :: v_dual_sub_f32 v54, v0, v4
	v_sub_f32_e32 v4, v2, v6
	v_dual_sub_f32 v58, v14, v18 :: v_dual_sub_f32 v59, v15, v19
	v_sub_f32_e32 v55, v1, v5
	v_dual_sub_f32 v5, v3, v7 :: v_dual_sub_f32 v62, v22, v26
	s_delay_alu instid0(VALU_DEP_3) | instskip(NEXT) | instid1(VALU_DEP_4)
	v_fma_f32 v56, v14, 2.0, -v58
	v_fma_f32 v57, v15, 2.0, -v59
	v_lshlrev_b32_e32 v15, 1, v152
	v_and_or_b32 v7, 0x7c, v169, v68
	v_lshlrev_b32_e32 v14, 1, v154
	v_dual_sub_f32 v18, v16, v20 :: v_dual_sub_f32 v19, v17, v21
	v_dual_sub_f32 v63, v23, v27 :: v_dual_sub_f32 v26, v24, v28
	;; [unrolled: 1-line block ×3, first 2 shown]
	v_sub_f32_e32 v159, v47, v51
	v_sub_f32_e32 v51, v49, v53
	v_fma_f32 v53, v1, 2.0, -v55
	v_lshlrev_b32_e32 v146, 3, v7
	v_and_or_b32 v7, 0x3fc, v14, v68
	v_and_or_b32 v14, 0x7fc, v15, v68
	v_sub_f32_e32 v50, v48, v52
	v_fma_f32 v52, v0, 2.0, -v54
	v_fma_f32 v2, v2, 2.0, -v4
	;; [unrolled: 1-line block ×3, first 2 shown]
	v_lshlrev_b32_e32 v145, 3, v14
	v_fma_f32 v16, v16, 2.0, -v18
	v_fma_f32 v17, v17, 2.0, -v19
	;; [unrolled: 1-line block ×6, first 2 shown]
	ds_store_b128 v77, v[52:55]
	ds_store_b128 v84, v[2:5]
	;; [unrolled: 1-line block ×6, first 2 shown]
	v_lshlrev_b32_e32 v0, 1, v148
	v_lshlrev_b32_e32 v3, 1, v95
	;; [unrolled: 1-line block ×3, first 2 shown]
	v_dual_sub_f32 v35, v33, v37 :: v_dual_lshlrev_b32 v16, 1, v151
	s_delay_alu instid0(VALU_DEP_4)
	v_and_or_b32 v0, 0xfc, v0, v68
	v_sub_f32_e32 v66, v30, v34
	v_and_or_b32 v3, 0x3fc, v3, v68
	v_dual_sub_f32 v34, v32, v36 :: v_dual_sub_f32 v75, v39, v43
	v_and_or_b32 v4, 0x2fc, v4, v68
	v_sub_f32_e32 v74, v38, v42
	v_dual_sub_f32 v42, v40, v44 :: v_dual_lshlrev_b32 v149, 3, v7
	v_sub_f32_e32 v43, v41, v45
	v_and_or_b32 v15, 0x4fc, v16, v68
	v_fma_f32 v65, v31, 2.0, -v67
	v_fma_f32 v32, v32, 2.0, -v34
	v_fma_f32 v33, v33, 2.0, -v35
	v_lshlrev_b32_e32 v87, 3, v0
	v_fma_f32 v64, v30, 2.0, -v66
	v_fma_f32 v73, v39, 2.0, -v75
	v_lshlrev_b32_e32 v255, 3, v4
	v_fma_f32 v72, v38, 2.0, -v74
	v_fma_f32 v40, v40, 2.0, -v42
	;; [unrolled: 1-line block ×4, first 2 shown]
	v_lshlrev_b32_e32 v83, 3, v15
	v_fma_f32 v156, v46, 2.0, -v158
	v_fma_f32 v48, v48, 2.0, -v50
	;; [unrolled: 1-line block ×3, first 2 shown]
	s_clause 0x1
	scratch_store_b32 off, v79, off offset:36
	scratch_store_b32 off, v78, off offset:24
	ds_store_b128 v79, v[64:67]
	ds_store_b128 v78, v[32:35]
	ds_store_b128 v91, v[72:75]
	ds_store_b128 v90, v[40:43]
	ds_store_b128 v89, v[156:159]
	ds_store_b128 v88, v[48:51]
	global_wb scope:SCOPE_SE
	s_wait_storecnt_dscnt 0x0
	s_barrier_signal -1
	s_barrier_wait -1
	global_inv scope:SCOPE_SE
	global_load_b64 v[60:61], v71, s[10:11]
	v_lshlrev_b32_e32 v1, 1, v155
	v_lshlrev_b32_e32 v2, 1, v153
	;; [unrolled: 1-line block ×5, first 2 shown]
	v_and_or_b32 v1, 0x1fc, v1, v68
	v_and_or_b32 v2, 0x1fc, v2, v68
	;; [unrolled: 1-line block ×4, first 2 shown]
	v_lshlrev_b32_e32 v71, 3, v3
	v_lshlrev_b32_e32 v86, 3, v1
	;; [unrolled: 1-line block ×5, first 2 shown]
	ds_load_2addr_b64 v[0:3], v11 offset0:112 offset1:164
	ds_load_2addr_b64 v[4:7], v76 offset0:88 offset1:140
	v_and_or_b32 v16, 0x4fc, v17, v68
	s_delay_alu instid0(VALU_DEP_1)
	v_lshlrev_b32_e32 v82, 3, v16
	ds_load_2addr_b64 v[14:17], v209 offset1:52
	ds_load_2addr_b64 v[18:21], v209 offset0:104 offset1:156
	ds_load_2addr_b64 v[22:25], v10 offset0:64 offset1:116
	;; [unrolled: 1-line block ×9, first 2 shown]
	global_wb scope:SCOPE_SE
	s_wait_loadcnt_dscnt 0x0
	s_barrier_signal -1
	s_barrier_wait -1
	global_inv scope:SCOPE_SE
	v_mul_f32_e32 v77, v36, v61
	v_mul_f32_e32 v49, v6, v61
	;; [unrolled: 1-line block ×7, first 2 shown]
	v_fmac_f32_e32 v49, v7, v60
	v_fmac_f32_e32 v67, v25, v60
	v_fma_f32 v0, v0, v60, -v42
	v_fma_f32 v2, v2, v60, -v44
	v_dual_mul_f32 v58, v23, v61 :: v_dual_fmac_f32 v77, v37, v60
	v_mul_f32_e32 v59, v22, v61
	v_mul_f32_e32 v69, v30, v61
	;; [unrolled: 1-line block ×8, first 2 shown]
	v_dual_mul_f32 v79, v38, v61 :: v_dual_sub_f32 v2, v16, v2
	v_mul_f32_e32 v76, v37, v61
	v_dual_mul_f32 v81, v40, v61 :: v_dual_sub_f32 v0, v14, v0
	v_dual_mul_f32 v68, v31, v61 :: v_dual_fmac_f32 v43, v1, v60
	v_mul_f32_e32 v80, v41, v61
	v_dual_mul_f32 v46, v5, v61 :: v_dual_fmac_f32 v59, v23, v60
	v_mul_f32_e32 v47, v4, v61
	v_dual_mul_f32 v48, v7, v61 :: v_dual_fmac_f32 v73, v33, v60
	v_fmac_f32_e32 v45, v3, v60
	v_fma_f32 v22, v22, v60, -v58
	v_fmac_f32_e32 v69, v31, v60
	v_fma_f32 v24, v24, v60, -v66
	;; [unrolled: 2-line block ×3, first 2 shown]
	v_fma_f32 v35, v38, v60, -v78
	v_fmac_f32_e32 v79, v39, v60
	v_fmac_f32_e32 v81, v41, v60
	v_fma_f32 v25, v30, v60, -v68
	v_sub_f32_e32 v1, v15, v43
	v_fma_f32 v38, v40, v60, -v80
	v_sub_f32_e32 v31, v29, v67
	v_fma_f32 v33, v34, v60, -v74
	v_fma_f32 v34, v36, v60, -v76
	;; [unrolled: 1-line block ×3, first 2 shown]
	v_fmac_f32_e32 v47, v5, v60
	v_fma_f32 v6, v6, v60, -v48
	v_sub_f32_e32 v3, v17, v45
	v_dual_sub_f32 v7, v21, v49 :: v_dual_sub_f32 v22, v26, v22
	v_dual_sub_f32 v23, v27, v59 :: v_dual_sub_f32 v30, v28, v24
	;; [unrolled: 1-line block ×9, first 2 shown]
	v_sub_f32_e32 v6, v20, v6
	v_fma_f32 v14, v14, 2.0, -v0
	v_fma_f32 v15, v15, 2.0, -v1
	;; [unrolled: 1-line block ×24, first 2 shown]
	scratch_store_b32 off, v146, off offset:16 ; 4-byte Folded Spill
	ds_store_2addr_b64 v146, v[14:15], v[0:1] offset1:2
	ds_store_2addr_b64 v87, v[16:17], v[2:3] offset1:2
	;; [unrolled: 1-line block ×6, first 2 shown]
	s_clause 0x5
	scratch_store_b32 off, v156, off offset:32
	scratch_store_b32 off, v150, off offset:28
	;; [unrolled: 1-line block ×6, first 2 shown]
	ds_store_2addr_b64 v156, v[58:59], v[24:25] offset1:2
	ds_store_2addr_b64 v150, v[26:27], v[44:45] offset1:2
	ds_store_2addr_b64 v149, v[46:47], v[48:49] offset1:2
	ds_store_2addr_b64 v145, v[50:51], v[32:33] offset1:2
	ds_store_2addr_b64 v83, v[34:35], v[36:37] offset1:2
	ds_store_2addr_b64 v82, v[38:39], v[40:41] offset1:2
	global_wb scope:SCOPE_SE
	s_wait_storecnt_dscnt 0x0
	s_barrier_signal -1
	s_barrier_wait -1
	global_inv scope:SCOPE_SE
	ds_load_2addr_b64 v[28:31], v209 offset1:96
	ds_load_2addr_b64 v[4:7], v12 offset0:64 offset1:160
	ds_load_2addr_b64 v[20:23], v13 offset0:128 offset1:224
	ds_load_2addr_b64 v[16:19], v11 offset0:64 offset1:160
	ds_load_2addr_b64 v[56:59], v10 offset1:96
	ds_load_2addr_b64 v[52:55], v9 offset0:64 offset1:160
	ds_load_b64 v[66:67], v209 offset:9216
	v_add_co_u32 v62, s2, s8, v209
	s_wait_alu 0xf1ff
	v_add_co_ci_u32_e64 v63, null, s9, 0, s2
                                        ; implicit-def: $vgpr64
	s_and_saveexec_b32 s2, vcc_lo
	s_cbranch_execz .LBB0_3
; %bb.2:
	v_add_nc_u32_e32 v0, 0xc00, v209
	ds_load_2addr_b64 v[24:27], v209 offset0:52 offset1:148
	ds_load_2addr_b64 v[44:47], v12 offset0:116 offset1:212
	;; [unrolled: 1-line block ×6, first 2 shown]
	ds_load_b64 v[64:65], v209 offset:9632
.LBB0_3:
	s_wait_alu 0xfffe
	s_or_b32 exec_lo, exec_lo, s2
	v_and_b32_e32 v210, 3, v208
	s_delay_alu instid0(VALU_DEP_1) | instskip(NEXT) | instid1(VALU_DEP_1)
	v_mul_u32_u24_e32 v0, 12, v210
	v_lshlrev_b32_e32 v68, 3, v0
	s_clause 0x1
	global_load_b128 v[0:3], v68, s[10:11] offset:16
	global_load_b128 v[12:15], v68, s[10:11] offset:32
	s_wait_loadcnt_dscnt 0x105
	v_mul_f32_e32 v8, v5, v3
	v_mul_f32_e32 v146, v4, v3
	s_wait_loadcnt_dscnt 0x4
	v_dual_mul_f32 v150, v6, v13 :: v_dual_mul_f32 v157, v20, v15
	s_delay_alu instid0(VALU_DEP_3) | instskip(SKIP_2) | instid1(VALU_DEP_4)
	v_fma_f32 v145, v4, v2, -v8
	v_mul_f32_e32 v4, v7, v13
	v_fmac_f32_e32 v146, v5, v2
	v_dual_fmac_f32 v150, v7, v12 :: v_dual_fmac_f32 v157, v21, v14
	s_delay_alu instid0(VALU_DEP_3) | instskip(SKIP_1) | instid1(VALU_DEP_1)
	v_fma_f32 v149, v6, v12, -v4
	v_mul_f32_e32 v4, v21, v15
	v_fma_f32 v156, v20, v14, -v4
	s_clause 0x1
	global_load_b128 v[4:7], v68, s[10:11] offset:48
	global_load_b128 v[8:11], v68, s[10:11] offset:64
	s_wait_loadcnt_dscnt 0x2
	v_dual_mul_f32 v20, v23, v5 :: v_dual_mul_f32 v165, v56, v11
	v_mul_f32_e32 v161, v16, v7
	v_mul_f32_e32 v159, v22, v5
	;; [unrolled: 1-line block ×3, first 2 shown]
	s_delay_alu instid0(VALU_DEP_4)
	v_fma_f32 v158, v22, v4, -v20
	v_mul_f32_e32 v20, v17, v7
	v_fmac_f32_e32 v165, v57, v10
	v_fmac_f32_e32 v159, v23, v4
	;; [unrolled: 1-line block ×4, first 2 shown]
	v_fma_f32 v160, v16, v6, -v20
	v_mul_f32_e32 v16, v19, v9
	v_add_f32_e32 v185, v159, v165
	s_delay_alu instid0(VALU_DEP_4) | instskip(NEXT) | instid1(VALU_DEP_3)
	v_add_f32_e32 v203, v161, v163
	v_fma_f32 v162, v18, v8, -v16
	v_dual_mul_f32 v16, v57, v11 :: v_dual_mul_f32 v57, v46, v13
	s_delay_alu instid0(VALU_DEP_1)
	v_fma_f32 v164, v56, v10, -v16
	s_clause 0x1
	global_load_b128 v[16:19], v68, s[10:11] offset:80
	global_load_b128 v[20:23], v68, s[10:11] offset:96
	v_fmac_f32_e32 v57, v47, v12
	global_wb scope:SCOPE_SE
	s_wait_loadcnt_dscnt 0x0
	s_barrier_signal -1
	v_sub_f32_e32 v206, v158, v164
	s_barrier_wait -1
	global_inv scope:SCOPE_SE
	v_mul_f32_e32 v56, v59, v17
	v_mul_f32_e32 v167, v58, v17
	v_dual_mul_f32 v171, v54, v21 :: v_dual_mul_f32 v168, v52, v19
	s_delay_alu instid0(VALU_DEP_3) | instskip(NEXT) | instid1(VALU_DEP_2)
	v_fma_f32 v166, v58, v16, -v56
	v_dual_mul_f32 v56, v53, v19 :: v_dual_fmac_f32 v171, v55, v20
	s_delay_alu instid0(VALU_DEP_3) | instskip(NEXT) | instid1(VALU_DEP_3)
	v_dual_fmac_f32 v167, v59, v16 :: v_dual_fmac_f32 v168, v53, v18
	v_sub_f32_e32 v201, v156, v166
	s_delay_alu instid0(VALU_DEP_3) | instskip(SKIP_4) | instid1(VALU_DEP_4)
	v_fma_f32 v59, v52, v18, -v56
	v_mul_f32_e32 v52, v55, v21
	v_dual_mul_f32 v56, v48, v15 :: v_dual_mul_f32 v55, v50, v5
	v_mul_f32_e32 v58, v44, v3
	v_sub_f32_e32 v193, v146, v171
	v_fma_f32 v170, v54, v20, -v52
	v_mul_f32_e32 v52, v45, v3
	v_dual_fmac_f32 v56, v49, v14 :: v_dual_fmac_f32 v55, v51, v4
	v_fmac_f32_e32 v58, v45, v2
	v_sub_f32_e32 v198, v149, v59
	s_delay_alu instid0(VALU_DEP_4) | instskip(SKIP_4) | instid1(VALU_DEP_4)
	v_fma_f32 v54, v44, v2, -v52
	v_dual_mul_f32 v44, v47, v13 :: v_dual_sub_f32 v195, v150, v168
	v_sub_f32_e32 v199, v157, v167
	v_mul_f32_e32 v221, 0x3eedf032, v201
	v_mul_f32_e32 v186, 0x3f29c268, v201
	v_fma_f32 v53, v46, v12, -v44
	v_dual_mul_f32 v44, v49, v15 :: v_dual_mul_f32 v49, v34, v9
	v_mul_f32_e32 v218, 0x3f6f5d39, v195
	v_mul_f32_e32 v220, 0x3eedf032, v199
	v_add_f32_e32 v177, v157, v167
	s_delay_alu instid0(VALU_DEP_4) | instskip(SKIP_3) | instid1(VALU_DEP_2)
	v_fmac_f32_e32 v49, v35, v8
	v_fma_f32 v52, v48, v14, -v44
	v_mul_f32_e32 v44, v51, v5
	v_mul_f32_e32 v48, v36, v11
	v_fma_f32 v47, v50, v4, -v44
	v_mul_f32_e32 v44, v33, v7
	v_mul_f32_e32 v50, v32, v7
	s_delay_alu instid0(VALU_DEP_4) | instskip(NEXT) | instid1(VALU_DEP_2)
	v_fmac_f32_e32 v48, v37, v10
	v_dual_fmac_f32 v50, v33, v6 :: v_dual_mul_f32 v33, v42, v21
	s_delay_alu instid0(VALU_DEP_4) | instskip(SKIP_1) | instid1(VALU_DEP_3)
	v_fma_f32 v46, v32, v6, -v44
	v_mul_f32_e32 v32, v35, v9
	v_fmac_f32_e32 v33, v43, v20
	s_delay_alu instid0(VALU_DEP_2) | instskip(SKIP_1) | instid1(VALU_DEP_1)
	v_fma_f32 v45, v34, v8, -v32
	v_dual_mul_f32 v32, v37, v11 :: v_dual_mul_f32 v37, v38, v17
	v_fma_f32 v44, v36, v10, -v32
	v_mul_f32_e32 v32, v39, v17
	s_delay_alu instid0(VALU_DEP_3) | instskip(SKIP_1) | instid1(VALU_DEP_3)
	v_dual_fmac_f32 v37, v39, v16 :: v_dual_mul_f32 v36, v40, v19
	v_mul_f32_e32 v39, v66, v23
	v_fma_f32 v35, v38, v16, -v32
	v_mul_f32_e32 v38, v67, v23
	s_delay_alu instid0(VALU_DEP_3) | instskip(NEXT) | instid1(VALU_DEP_2)
	v_fmac_f32_e32 v39, v67, v22
	v_fma_f32 v38, v66, v22, -v38
	v_mul_f32_e32 v32, v41, v19
	s_delay_alu instid0(VALU_DEP_1) | instskip(SKIP_2) | instid1(VALU_DEP_2)
	v_fma_f32 v34, v40, v18, -v32
	v_mul_f32_e32 v40, v30, v1
	v_mul_f32_e32 v32, v43, v21
	v_fmac_f32_e32 v40, v31, v0
	v_mul_f32_e32 v31, v31, v1
	s_delay_alu instid0(VALU_DEP_3) | instskip(NEXT) | instid1(VALU_DEP_2)
	v_fma_f32 v32, v42, v20, -v32
	v_fma_f32 v30, v30, v0, -v31
	s_delay_alu instid0(VALU_DEP_4) | instskip(NEXT) | instid1(VALU_DEP_2)
	v_sub_f32_e32 v31, v40, v39
	v_add_f32_e32 v178, v28, v30
	s_delay_alu instid0(VALU_DEP_2)
	v_mul_f32_e32 v42, 0xbf52af12, v31
	v_mul_f32_e32 v66, 0xbf7e222b, v31
	;; [unrolled: 1-line block ×4, first 2 shown]
	v_dual_mul_f32 v69, 0xbe750f2a, v31 :: v_dual_fmac_f32 v36, v41, v18
	v_mul_f32_e32 v41, 0xbeedf032, v31
	v_add_f32_e32 v31, v30, v38
	s_delay_alu instid0(VALU_DEP_1)
	v_fma_f32 v43, 0x3f62ad3f, v31, -v41
	v_fmac_f32_e32 v41, 0x3f62ad3f, v31
	v_fma_f32 v51, 0x3f116cb1, v31, -v42
	v_fmac_f32_e32 v42, 0x3f116cb1, v31
	;; [unrolled: 2-line block ×6, first 2 shown]
	v_sub_f32_e32 v31, v30, v38
	v_add_f32_e32 v197, v28, v43
	v_add_f32_e32 v30, v28, v41
	;; [unrolled: 1-line block ×4, first 2 shown]
	v_mul_f32_e32 v76, 0xbeedf032, v31
	v_mul_f32_e32 v77, 0xbf52af12, v31
	v_mul_f32_e32 v78, 0xbf7e222b, v31
	v_mul_f32_e32 v79, 0xbf6f5d39, v31
	v_dual_mul_f32 v80, 0xbf29c268, v31 :: v_dual_add_f32 v189, v28, v69
	v_mul_f32_e32 v31, 0xbe750f2a, v31
	v_add_f32_e32 v81, v40, v39
	v_sub_f32_e32 v75, v160, v162
	v_add_f32_e32 v72, v28, v72
	v_dual_add_f32 v181, v28, v67 :: v_dual_sub_f32 v194, v145, v170
	s_delay_alu instid0(VALU_DEP_4) | instskip(NEXT) | instid1(VALU_DEP_4)
	v_fmamk_f32 v173, v81, 0xbeb58ec6, v79
	v_mul_f32_e32 v215, 0x3eedf032, v75
	v_add_f32_e32 v179, v29, v40
	v_dual_mul_f32 v183, 0xbe750f2a, v198 :: v_dual_sub_f32 v74, v161, v163
	s_delay_alu instid0(VALU_DEP_4)
	v_add_f32_e32 v213, v29, v173
	v_fmamk_f32 v82, v81, 0x3f62ad3f, v76
	v_mul_f32_e32 v173, 0xbf6f5d39, v194
	v_mul_f32_e32 v217, 0xbe750f2a, v194
	;; [unrolled: 1-line block ×4, first 2 shown]
	v_add_f32_e32 v196, v29, v82
	v_fma_f32 v76, 0x3f62ad3f, v81, -v76
	v_fmamk_f32 v83, v81, 0x3f116cb1, v77
	v_fma_f32 v77, 0x3f116cb1, v81, -v77
	v_fmamk_f32 v172, v81, 0x3df6dbef, v78
	v_fmamk_f32 v174, v81, 0xbf3f9e67, v80
	;; [unrolled: 1-line block ×3, first 2 shown]
	v_fma_f32 v78, 0x3df6dbef, v81, -v78
	v_fma_f32 v79, 0xbeb58ec6, v81, -v79
	;; [unrolled: 1-line block ×4, first 2 shown]
	v_dual_add_f32 v31, v29, v76 :: v_dual_add_f32 v76, v28, v51
	v_add_f32_e32 v82, v29, v83
	v_add_f32_e32 v43, v29, v77
	;; [unrolled: 1-line block ×8, first 2 shown]
	v_mul_f32_e32 v172, 0xbf6f5d39, v193
	v_add_f32_e32 v40, v29, v78
	v_add_f32_e32 v180, v29, v79
	;; [unrolled: 1-line block ×5, first 2 shown]
	v_mul_f32_e32 v192, 0x3f7e222b, v206
	v_sub_f32_e32 v202, v159, v165
	v_add_f32_e32 v188, v29, v81
	v_fma_f32 v29, 0xbeb58ec6, v28, -v172
	v_mul_f32_e32 v175, 0xbe750f2a, v195
	v_mul_f32_e32 v78, 0x3f29c268, v194
	;; [unrolled: 1-line block ×4, first 2 shown]
	v_dual_add_f32 v66, v29, v76 :: v_dual_add_f32 v29, v146, v171
	v_dual_add_f32 v200, v160, v162 :: v_dual_add_f32 v145, v178, v145
	v_add_f32_e32 v146, v179, v146
	v_mul_f32_e32 v223, 0xbf29c268, v74
	s_delay_alu instid0(VALU_DEP_4) | instskip(SKIP_1) | instid1(VALU_DEP_4)
	v_fmamk_f32 v42, v29, 0xbeb58ec6, v173
	v_mul_f32_e32 v79, 0x3eedf032, v195
	v_dual_add_f32 v145, v145, v149 :: v_dual_add_f32 v146, v146, v150
	s_delay_alu instid0(VALU_DEP_3) | instskip(SKIP_1) | instid1(VALU_DEP_3)
	v_dual_mul_f32 v226, 0x3f7e222b, v193 :: v_dual_add_f32 v67, v42, v82
	v_add_f32_e32 v42, v149, v59
	v_dual_mul_f32 v82, 0xbf7e222b, v201 :: v_dual_add_f32 v145, v145, v156
	v_mul_f32_e32 v81, 0xbf7e222b, v199
	v_mul_f32_e32 v225, 0x3f52af12, v75
	s_delay_alu instid0(VALU_DEP_4) | instskip(NEXT) | instid1(VALU_DEP_4)
	v_fma_f32 v68, 0xbf788fa5, v42, -v175
	v_add_f32_e32 v145, v145, v158
	s_delay_alu instid0(VALU_DEP_2) | instskip(SKIP_1) | instid1(VALU_DEP_3)
	v_add_f32_e32 v68, v68, v66
	v_add_f32_e32 v66, v150, v168
	v_dual_add_f32 v145, v145, v160 :: v_dual_add_f32 v146, v146, v157
	s_delay_alu instid0(VALU_DEP_2) | instskip(NEXT) | instid1(VALU_DEP_2)
	v_fmamk_f32 v69, v66, 0xbf788fa5, v183
	v_dual_add_f32 v145, v145, v162 :: v_dual_mul_f32 v216, 0xbe750f2a, v193
	s_delay_alu instid0(VALU_DEP_3) | instskip(NEXT) | instid1(VALU_DEP_3)
	v_add_f32_e32 v146, v146, v159
	v_add_f32_e32 v69, v69, v67
	s_delay_alu instid0(VALU_DEP_3) | instskip(SKIP_1) | instid1(VALU_DEP_4)
	v_add_f32_e32 v145, v145, v164
	v_dual_add_f32 v67, v156, v166 :: v_dual_mul_f32 v184, 0x3f29c268, v199
	v_add_f32_e32 v146, v146, v161
	v_mul_f32_e32 v161, v26, v1
	s_delay_alu instid0(VALU_DEP_4) | instskip(NEXT) | instid1(VALU_DEP_4)
	v_add_f32_e32 v145, v145, v166
	v_fma_f32 v73, 0xbf3f9e67, v67, -v184
	s_delay_alu instid0(VALU_DEP_3) | instskip(NEXT) | instid1(VALU_DEP_3)
	v_dual_add_f32 v146, v146, v163 :: v_dual_fmac_f32 v161, v27, v0
	v_add_f32_e32 v59, v145, v59
	s_delay_alu instid0(VALU_DEP_3) | instskip(NEXT) | instid1(VALU_DEP_3)
	v_dual_mul_f32 v27, v27, v1 :: v_dual_add_f32 v68, v73, v68
	v_dual_fmamk_f32 v73, v177, 0xbf3f9e67, v186 :: v_dual_add_f32 v146, v146, v165
	s_delay_alu instid0(VALU_DEP_3) | instskip(NEXT) | instid1(VALU_DEP_2)
	v_add_f32_e32 v59, v59, v170
	v_dual_sub_f32 v170, v55, v48 :: v_dual_add_f32 v69, v73, v69
	v_add_f32_e32 v182, v158, v164
	s_delay_alu instid0(VALU_DEP_4) | instskip(NEXT) | instid1(VALU_DEP_4)
	v_add_f32_e32 v146, v146, v167
	v_dual_add_f32 v38, v59, v38 :: v_dual_mul_f32 v59, 0x3eedf032, v193
	s_delay_alu instid0(VALU_DEP_4) | instskip(NEXT) | instid1(VALU_DEP_4)
	v_mul_f32_e32 v159, 0xbf29c268, v170
	v_fma_f32 v73, 0x3df6dbef, v182, -v187
	s_delay_alu instid0(VALU_DEP_4) | instskip(NEXT) | instid1(VALU_DEP_2)
	v_add_f32_e32 v145, v146, v168
	v_add_f32_e32 v68, v73, v68
	v_fmamk_f32 v73, v185, 0x3df6dbef, v192
	v_mul_f32_e32 v222, 0xbf52af12, v202
	v_mul_f32_e32 v83, 0x3e750f2a, v202
	v_add_f32_e32 v145, v145, v171
	v_sub_f32_e32 v171, v50, v49
	v_add_f32_e32 v69, v73, v69
	v_fma_f32 v73, 0x3f62ad3f, v200, -v211
	v_fmac_f32_e32 v187, 0x3df6dbef, v182
	v_add_f32_e32 v39, v145, v39
	v_mul_f32_e32 v160, 0xbe750f2a, v171
	v_mul_f32_e32 v168, 0x3eedf032, v171
	v_dual_add_f32 v68, v73, v68 :: v_dual_fmamk_f32 v73, v203, 0x3f62ad3f, v215
	v_fma_f32 v76, 0xbeb58ec6, v42, -v218
	v_fmac_f32_e32 v175, 0xbf788fa5, v42
	s_delay_alu instid0(VALU_DEP_3) | instskip(SKIP_2) | instid1(VALU_DEP_2)
	v_add_f32_e32 v69, v73, v69
	v_fma_f32 v73, 0xbf788fa5, v28, -v216
	v_mul_f32_e32 v224, 0xbf52af12, v206
	v_add_f32_e32 v72, v73, v72
	v_fmamk_f32 v73, v29, 0xbf788fa5, v217
	v_fmac_f32_e32 v211, 0x3f62ad3f, v200
	s_delay_alu instid0(VALU_DEP_2) | instskip(SKIP_1) | instid1(VALU_DEP_1)
	v_dual_add_f32 v72, v76, v72 :: v_dual_add_f32 v73, v73, v77
	v_fmamk_f32 v76, v66, 0xbeb58ec6, v219
	v_add_f32_e32 v73, v76, v73
	v_fma_f32 v76, 0x3f62ad3f, v67, -v220
	s_delay_alu instid0(VALU_DEP_1) | instskip(SKIP_1) | instid1(VALU_DEP_1)
	v_add_f32_e32 v72, v76, v72
	v_fmamk_f32 v76, v177, 0x3f62ad3f, v221
	v_add_f32_e32 v73, v76, v73
	v_fma_f32 v76, 0x3f116cb1, v182, -v222
	s_delay_alu instid0(VALU_DEP_1) | instskip(SKIP_1) | instid1(VALU_DEP_1)
	v_add_f32_e32 v72, v76, v72
	v_fmamk_f32 v76, v185, 0x3f116cb1, v224
	v_add_f32_e32 v73, v76, v73
	v_fma_f32 v76, 0xbf3f9e67, v200, -v223
	v_fmac_f32_e32 v223, 0xbf3f9e67, v200
	s_delay_alu instid0(VALU_DEP_2) | instskip(SKIP_1) | instid1(VALU_DEP_1)
	v_add_f32_e32 v72, v76, v72
	v_mul_f32_e32 v76, 0xbf29c268, v75
	v_fmamk_f32 v77, v203, 0xbf3f9e67, v76
	s_delay_alu instid0(VALU_DEP_1) | instskip(SKIP_2) | instid1(VALU_DEP_2)
	v_add_f32_e32 v73, v77, v73
	v_lshrrev_b32_e32 v77, 2, v208
	v_fmac_f32_e32 v218, 0xbeb58ec6, v42
	v_mul_u32_u24_e32 v77, 52, v77
	s_delay_alu instid0(VALU_DEP_1) | instskip(NEXT) | instid1(VALU_DEP_1)
	v_or_b32_e32 v77, v77, v210
	v_lshlrev_b32_e32 v212, 3, v77
	v_mul_f32_e32 v77, 0x3f29c268, v193
	ds_store_2addr_b64 v212, v[68:69], v[72:73] offset0:8 offset1:12
	v_fma_f32 v68, 0xbf3f9e67, v28, -v77
	v_fmamk_f32 v69, v29, 0xbf3f9e67, v78
	v_fma_f32 v72, 0x3f62ad3f, v42, -v79
	v_fmac_f32_e32 v79, 0x3f62ad3f, v42
	s_delay_alu instid0(VALU_DEP_4) | instskip(NEXT) | instid1(VALU_DEP_4)
	v_dual_fmac_f32 v77, 0xbf3f9e67, v28 :: v_dual_add_f32 v68, v68, v214
	v_add_f32_e32 v69, v69, v213
	v_mul_f32_e32 v213, 0x3e750f2a, v206
	v_mul_f32_e32 v214, 0x3f52af12, v74
	s_delay_alu instid0(VALU_DEP_4) | instskip(SKIP_1) | instid1(VALU_DEP_1)
	v_add_f32_e32 v68, v72, v68
	v_fmamk_f32 v72, v66, 0x3f62ad3f, v80
	v_add_f32_e32 v69, v72, v69
	v_fma_f32 v72, 0x3df6dbef, v67, -v81
	v_fmac_f32_e32 v81, 0x3df6dbef, v67
	v_fmac_f32_e32 v220, 0x3f62ad3f, v67
	s_delay_alu instid0(VALU_DEP_3) | instskip(SKIP_1) | instid1(VALU_DEP_1)
	v_add_f32_e32 v68, v72, v68
	v_fmamk_f32 v72, v177, 0x3df6dbef, v82
	v_add_f32_e32 v69, v72, v69
	v_fma_f32 v72, 0xbf788fa5, v182, -v83
	s_delay_alu instid0(VALU_DEP_1) | instskip(SKIP_1) | instid1(VALU_DEP_1)
	v_dual_fmac_f32 v83, 0xbf788fa5, v182 :: v_dual_add_f32 v68, v72, v68
	v_fmamk_f32 v72, v185, 0xbf788fa5, v213
	v_add_f32_e32 v69, v72, v69
	v_fma_f32 v72, 0x3f116cb1, v200, -v214
	v_fmac_f32_e32 v222, 0x3f116cb1, v182
	s_delay_alu instid0(VALU_DEP_2) | instskip(SKIP_1) | instid1(VALU_DEP_1)
	v_add_f32_e32 v68, v72, v68
	v_fmamk_f32 v72, v203, 0x3f116cb1, v225
	v_add_f32_e32 v69, v72, v69
	v_fma_f32 v72, 0x3df6dbef, v28, -v226
	v_fmac_f32_e32 v226, 0x3df6dbef, v28
	s_delay_alu instid0(VALU_DEP_2) | instskip(NEXT) | instid1(VALU_DEP_1)
	v_dual_add_f32 v72, v72, v205 :: v_dual_mul_f32 v205, 0x3f7e222b, v194
	v_fmamk_f32 v73, v29, 0x3df6dbef, v205
	s_delay_alu instid0(VALU_DEP_1) | instskip(SKIP_1) | instid1(VALU_DEP_2)
	v_dual_add_f32 v73, v73, v204 :: v_dual_mul_f32 v204, 0xbf52af12, v195
	v_fmac_f32_e32 v216, 0xbf788fa5, v28
	v_fma_f32 v227, 0x3f116cb1, v42, -v204
	s_delay_alu instid0(VALU_DEP_1) | instskip(SKIP_1) | instid1(VALU_DEP_2)
	v_dual_add_f32 v41, v216, v41 :: v_dual_add_f32 v72, v227, v72
	v_mul_f32_e32 v227, 0xbf52af12, v198
	v_dual_fmac_f32 v204, 0x3f116cb1, v42 :: v_dual_add_f32 v41, v218, v41
	s_delay_alu instid0(VALU_DEP_1) | instskip(NEXT) | instid1(VALU_DEP_1)
	v_dual_fmamk_f32 v228, v66, 0x3f116cb1, v227 :: v_dual_add_f32 v41, v220, v41
	v_dual_add_f32 v73, v228, v73 :: v_dual_mul_f32 v228, 0x3e750f2a, v199
	s_delay_alu instid0(VALU_DEP_2) | instskip(NEXT) | instid1(VALU_DEP_2)
	v_add_f32_e32 v41, v222, v41
	v_fma_f32 v229, 0xbf788fa5, v67, -v228
	v_fmac_f32_e32 v228, 0xbf788fa5, v67
	s_delay_alu instid0(VALU_DEP_2) | instskip(NEXT) | instid1(VALU_DEP_1)
	v_dual_add_f32 v72, v229, v72 :: v_dual_mul_f32 v229, 0x3e750f2a, v201
	v_fmamk_f32 v230, v177, 0xbf788fa5, v229
	s_delay_alu instid0(VALU_DEP_1) | instskip(NEXT) | instid1(VALU_DEP_1)
	v_dual_add_f32 v73, v230, v73 :: v_dual_mul_f32 v230, 0x3eedf032, v202
	v_fma_f32 v231, 0x3f62ad3f, v182, -v230
	v_fmac_f32_e32 v230, 0x3f62ad3f, v182
	s_delay_alu instid0(VALU_DEP_2) | instskip(NEXT) | instid1(VALU_DEP_1)
	v_dual_add_f32 v72, v231, v72 :: v_dual_mul_f32 v231, 0x3eedf032, v206
	v_fmamk_f32 v232, v185, 0x3f62ad3f, v231
	s_delay_alu instid0(VALU_DEP_1) | instskip(NEXT) | instid1(VALU_DEP_1)
	v_dual_add_f32 v73, v232, v73 :: v_dual_mul_f32 v232, 0xbf6f5d39, v74
	v_fma_f32 v233, 0xbeb58ec6, v200, -v232
	s_delay_alu instid0(VALU_DEP_1) | instskip(NEXT) | instid1(VALU_DEP_1)
	v_dual_add_f32 v72, v233, v72 :: v_dual_mul_f32 v233, 0xbf6f5d39, v75
	v_fmamk_f32 v234, v203, 0xbeb58ec6, v233
	s_delay_alu instid0(VALU_DEP_1) | instskip(SKIP_2) | instid1(VALU_DEP_1)
	v_add_f32_e32 v73, v234, v73
	ds_store_2addr_b64 v212, v[68:69], v[72:73] offset0:16 offset1:20
	v_dual_mul_f32 v72, 0xbf52af12, v193 :: v_dual_mul_f32 v73, 0xbf52af12, v194
	v_fma_f32 v68, 0x3f116cb1, v28, -v72
	s_delay_alu instid0(VALU_DEP_1) | instskip(NEXT) | instid1(VALU_DEP_1)
	v_dual_fmamk_f32 v69, v29, 0x3f116cb1, v73 :: v_dual_add_f32 v68, v68, v197
	v_dual_add_f32 v69, v69, v196 :: v_dual_mul_f32 v196, 0xbf7e222b, v195
	s_delay_alu instid0(VALU_DEP_1) | instskip(NEXT) | instid1(VALU_DEP_1)
	v_fma_f32 v197, 0x3df6dbef, v42, -v196
	v_dual_add_f32 v68, v197, v68 :: v_dual_mul_f32 v197, 0xbf7e222b, v198
	s_delay_alu instid0(VALU_DEP_1) | instskip(NEXT) | instid1(VALU_DEP_1)
	v_fmamk_f32 v234, v66, 0x3df6dbef, v197
	v_dual_add_f32 v69, v234, v69 :: v_dual_mul_f32 v234, 0xbf6f5d39, v199
	s_delay_alu instid0(VALU_DEP_1) | instskip(NEXT) | instid1(VALU_DEP_1)
	v_fma_f32 v235, 0xbeb58ec6, v67, -v234
	v_dual_add_f32 v68, v235, v68 :: v_dual_mul_f32 v235, 0xbf6f5d39, v201
	v_fmac_f32_e32 v232, 0xbeb58ec6, v200
	s_delay_alu instid0(VALU_DEP_2) | instskip(NEXT) | instid1(VALU_DEP_1)
	v_fmamk_f32 v236, v177, 0xbeb58ec6, v235
	v_dual_add_f32 v69, v236, v69 :: v_dual_mul_f32 v236, 0xbf29c268, v202
	s_delay_alu instid0(VALU_DEP_1) | instskip(NEXT) | instid1(VALU_DEP_1)
	v_fma_f32 v237, 0xbf3f9e67, v182, -v236
	v_dual_add_f32 v68, v237, v68 :: v_dual_mul_f32 v237, 0xbf29c268, v206
	s_delay_alu instid0(VALU_DEP_1) | instskip(NEXT) | instid1(VALU_DEP_1)
	v_fmamk_f32 v238, v185, 0xbf3f9e67, v237
	v_dual_add_f32 v69, v238, v69 :: v_dual_mul_f32 v238, 0xbe750f2a, v74
	v_mul_f32_e32 v74, 0x3f7e222b, v74
	v_fmac_f32_e32 v214, 0x3f116cb1, v200
	s_delay_alu instid0(VALU_DEP_3) | instskip(NEXT) | instid1(VALU_DEP_1)
	v_fma_f32 v239, 0xbf788fa5, v200, -v238
	v_dual_add_f32 v68, v239, v68 :: v_dual_mul_f32 v239, 0xbe750f2a, v75
	v_mul_f32_e32 v75, 0x3f7e222b, v75
	s_delay_alu instid0(VALU_DEP_2) | instskip(NEXT) | instid1(VALU_DEP_1)
	v_fmamk_f32 v240, v203, 0xbf788fa5, v239
	v_add_f32_e32 v69, v240, v69
	ds_store_2addr_b64 v212, v[38:39], v[68:69] offset1:4
	v_fma_f32 v38, 0x3f62ad3f, v28, -v59
	v_mul_f32_e32 v69, 0xbf29c268, v195
	v_fmac_f32_e32 v59, 0x3f62ad3f, v28
	v_fmac_f32_e32 v236, 0xbf3f9e67, v182
	s_delay_alu instid0(VALU_DEP_4) | instskip(NEXT) | instid1(VALU_DEP_4)
	v_add_f32_e32 v38, v38, v191
	v_fma_f32 v145, 0xbf3f9e67, v42, -v69
	s_delay_alu instid0(VALU_DEP_4) | instskip(SKIP_2) | instid1(VALU_DEP_4)
	v_add_f32_e32 v59, v59, v189
	v_fmac_f32_e32 v69, 0xbf3f9e67, v42
	v_sub_f32_e32 v191, v53, v34
	v_add_f32_e32 v38, v145, v38
	v_mul_f32_e32 v145, 0xbf29c268, v198
	s_delay_alu instid0(VALU_DEP_4) | instskip(NEXT) | instid1(VALU_DEP_4)
	v_dual_add_f32 v59, v69, v59 :: v_dual_mul_f32 v68, 0x3eedf032, v194
	v_mul_f32_e32 v163, 0xbf7e222b, v191
	s_delay_alu instid0(VALU_DEP_3) | instskip(SKIP_1) | instid1(VALU_DEP_4)
	v_fmamk_f32 v146, v66, 0xbf3f9e67, v145
	v_fma_f32 v69, 0xbf3f9e67, v66, -v145
	v_fmamk_f32 v39, v29, 0x3f62ad3f, v68
	s_delay_alu instid0(VALU_DEP_1) | instskip(NEXT) | instid1(VALU_DEP_1)
	v_dual_add_f32 v39, v39, v190 :: v_dual_fmac_f32 v72, 0x3f116cb1, v28
	v_dual_sub_f32 v190, v47, v44 :: v_dual_add_f32 v39, v146, v39
	v_mul_f32_e32 v146, 0x3f52af12, v199
	s_delay_alu instid0(VALU_DEP_2) | instskip(NEXT) | instid1(VALU_DEP_4)
	v_mul_f32_e32 v165, 0xbf29c268, v190
	v_add_f32_e32 v30, v72, v30
	s_delay_alu instid0(VALU_DEP_3) | instskip(SKIP_1) | instid1(VALU_DEP_1)
	v_fma_f32 v149, 0x3f116cb1, v67, -v146
	v_fmac_f32_e32 v146, 0x3f116cb1, v67
	v_dual_add_f32 v59, v146, v59 :: v_dual_add_f32 v38, v149, v38
	v_mul_f32_e32 v149, 0x3f52af12, v201
	v_fma_f32 v68, 0x3f62ad3f, v29, -v68
	s_delay_alu instid0(VALU_DEP_2) | instskip(NEXT) | instid1(VALU_DEP_1)
	v_fmamk_f32 v150, v177, 0x3f116cb1, v149
	v_dual_add_f32 v68, v68, v188 :: v_dual_add_f32 v39, v150, v39
	v_mul_f32_e32 v150, 0xbf6f5d39, v202
	s_delay_alu instid0(VALU_DEP_2) | instskip(SKIP_1) | instid1(VALU_DEP_3)
	v_add_f32_e32 v68, v69, v68
	v_fma_f32 v69, 0x3f116cb1, v177, -v149
	v_fma_f32 v156, 0xbeb58ec6, v182, -v150
	v_fmac_f32_e32 v150, 0xbeb58ec6, v182
	s_delay_alu instid0(VALU_DEP_3) | instskip(SKIP_1) | instid1(VALU_DEP_3)
	v_add_f32_e32 v68, v69, v68
	v_mul_f32_e32 v182, 0xbe750f2a, v191
	v_dual_add_f32 v59, v150, v59 :: v_dual_add_f32 v38, v156, v38
	v_mul_f32_e32 v156, 0xbf6f5d39, v206
	s_delay_alu instid0(VALU_DEP_1) | instskip(SKIP_2) | instid1(VALU_DEP_3)
	v_fmamk_f32 v157, v185, 0xbeb58ec6, v156
	v_fma_f32 v69, 0xbeb58ec6, v185, -v156
	v_fma_f32 v156, v26, v0, -v27
	v_add_f32_e32 v39, v157, v39
	v_fma_f32 v157, 0x3df6dbef, v200, -v74
	s_delay_alu instid0(VALU_DEP_4) | instskip(SKIP_2) | instid1(VALU_DEP_4)
	v_add_f32_e32 v69, v69, v68
	v_fmac_f32_e32 v74, 0x3df6dbef, v200
	v_fmac_f32_e32 v234, 0xbeb58ec6, v67
	v_dual_add_f32 v38, v157, v38 :: v_dual_fmamk_f32 v157, v203, 0x3df6dbef, v75
	v_fma_f32 v75, 0x3df6dbef, v203, -v75
	s_delay_alu instid0(VALU_DEP_4)
	v_add_f32_e32 v68, v74, v59
	v_fma_f32 v59, 0x3f62ad3f, v66, -v80
	v_fma_f32 v74, 0xbeb58ec6, v203, -v233
	v_add_f32_e32 v39, v157, v39
	v_dual_add_f32 v69, v75, v69 :: v_dual_fmac_f32 v238, 0xbf788fa5, v200
	ds_store_2addr_b64 v212, v[38:39], v[68:69] offset0:24 offset1:28
	v_fma_f32 v39, 0xbf3f9e67, v29, -v78
	v_fma_f32 v68, 0x3df6dbef, v29, -v205
	;; [unrolled: 1-line block ×3, first 2 shown]
	s_delay_alu instid0(VALU_DEP_2) | instskip(NEXT) | instid1(VALU_DEP_1)
	v_dual_add_f32 v39, v39, v180 :: v_dual_add_f32 v68, v68, v174
	v_add_f32_e32 v39, v59, v39
	v_fma_f32 v59, 0x3df6dbef, v177, -v82
	s_delay_alu instid0(VALU_DEP_3) | instskip(SKIP_1) | instid1(VALU_DEP_3)
	v_add_f32_e32 v68, v69, v68
	v_fma_f32 v69, 0xbf788fa5, v177, -v229
	v_add_f32_e32 v39, v59, v39
	v_fma_f32 v59, 0xbf788fa5, v185, -v213
	s_delay_alu instid0(VALU_DEP_3) | instskip(SKIP_1) | instid1(VALU_DEP_3)
	v_add_f32_e32 v68, v69, v68
	v_fma_f32 v69, 0x3f62ad3f, v185, -v231
	v_add_f32_e32 v39, v59, v39
	v_fma_f32 v59, 0x3f116cb1, v203, -v225
	s_delay_alu instid0(VALU_DEP_3) | instskip(NEXT) | instid1(VALU_DEP_2)
	v_add_f32_e32 v69, v69, v68
	v_add_f32_e32 v39, v59, v39
	;; [unrolled: 1-line block ×3, first 2 shown]
	s_delay_alu instid0(VALU_DEP_3) | instskip(NEXT) | instid1(VALU_DEP_2)
	v_add_f32_e32 v69, v74, v69
	v_add_f32_e32 v59, v204, v59
	s_delay_alu instid0(VALU_DEP_1) | instskip(NEXT) | instid1(VALU_DEP_1)
	v_dual_add_f32 v59, v228, v59 :: v_dual_add_f32 v38, v77, v181
	v_dual_add_f32 v59, v230, v59 :: v_dual_add_f32 v38, v79, v38
	s_delay_alu instid0(VALU_DEP_1) | instskip(NEXT) | instid1(VALU_DEP_2)
	v_add_f32_e32 v68, v232, v59
	v_dual_add_f32 v38, v81, v38 :: v_dual_add_f32 v59, v55, v48
	s_delay_alu instid0(VALU_DEP_1) | instskip(NEXT) | instid1(VALU_DEP_1)
	v_add_f32_e32 v38, v83, v38
	v_add_f32_e32 v38, v214, v38
	ds_store_2addr_b64 v212, v[68:69], v[38:39] offset0:32 offset1:36
	v_fma_f32 v39, 0xbeb58ec6, v29, -v173
	v_sub_f32_e32 v173, v56, v37
	s_delay_alu instid0(VALU_DEP_2) | instskip(SKIP_1) | instid1(VALU_DEP_3)
	v_add_f32_e32 v39, v39, v43
	v_fma_f32 v43, 0xbf788fa5, v66, -v183
	v_mul_f32_e32 v158, 0xbf6f5d39, v173
	v_mul_f32_e32 v179, 0x3f29c268, v173
	s_delay_alu instid0(VALU_DEP_3) | instskip(SKIP_1) | instid1(VALU_DEP_1)
	v_add_f32_e32 v39, v43, v39
	v_fma_f32 v43, 0xbf3f9e67, v177, -v186
	v_add_f32_e32 v39, v43, v39
	v_fma_f32 v43, 0x3df6dbef, v185, -v192
	v_sub_f32_e32 v192, v52, v35
	s_delay_alu instid0(VALU_DEP_2) | instskip(SKIP_1) | instid1(VALU_DEP_3)
	v_add_f32_e32 v39, v43, v39
	v_fma_f32 v43, 0x3f62ad3f, v203, -v215
	v_mul_f32_e32 v164, 0xbf6f5d39, v192
	v_mul_f32_e32 v183, 0x3f29c268, v192
	s_delay_alu instid0(VALU_DEP_3) | instskip(SKIP_1) | instid1(VALU_DEP_1)
	v_add_f32_e32 v39, v43, v39
	v_fma_f32 v43, 0xbf788fa5, v29, -v217
	v_add_f32_e32 v40, v43, v40
	v_fma_f32 v43, 0xbeb58ec6, v66, -v219
	s_delay_alu instid0(VALU_DEP_1) | instskip(SKIP_1) | instid1(VALU_DEP_1)
	v_add_f32_e32 v40, v43, v40
	v_fma_f32 v43, 0x3f62ad3f, v177, -v221
	v_add_f32_e32 v40, v43, v40
	v_fma_f32 v43, 0x3f116cb1, v185, -v224
	s_delay_alu instid0(VALU_DEP_1)
	v_dual_fmac_f32 v184, 0xbf3f9e67, v67 :: v_dual_add_f32 v43, v43, v40
	v_fmac_f32_e32 v172, 0xbeb58ec6, v28
	v_fma_f32 v28, 0x3f116cb1, v29, -v73
	v_fma_f32 v29, 0x3df6dbef, v66, -v197
	v_add_f32_e32 v40, v223, v41
	v_add_f32_e32 v66, v56, v37
	;; [unrolled: 1-line block ×4, first 2 shown]
	v_fma_f32 v31, 0xbeb58ec6, v177, -v235
	v_fma_f32 v51, 0xbf3f9e67, v203, -v76
	v_sub_f32_e32 v172, v58, v33
	v_add_f32_e32 v38, v175, v38
	v_add_f32_e32 v28, v29, v28
	v_fma_f32 v29, 0xbf3f9e67, v185, -v237
	v_add_f32_e32 v41, v51, v43
	v_mul_f32_e32 v149, 0xbf52af12, v172
	s_delay_alu instid0(VALU_DEP_4) | instskip(SKIP_3) | instid1(VALU_DEP_3)
	v_dual_add_f32 v51, v58, v33 :: v_dual_add_f32 v28, v31, v28
	v_dual_add_f32 v38, v184, v38 :: v_dual_sub_f32 v185, v46, v45
	v_sub_f32_e32 v188, v54, v32
	v_fma_f32 v31, 0xbf788fa5, v203, -v239
	v_dual_add_f32 v29, v29, v28 :: v_dual_add_f32 v38, v187, v38
	s_delay_alu instid0(VALU_DEP_4) | instskip(NEXT) | instid1(VALU_DEP_4)
	v_mul_f32_e32 v167, 0xbe750f2a, v185
	v_mul_f32_e32 v162, 0xbf52af12, v188
	v_sub_f32_e32 v175, v57, v36
	s_delay_alu instid0(VALU_DEP_4)
	v_add_f32_e32 v29, v31, v29
	v_add_f32_e32 v38, v211, v38
	v_mul_f32_e32 v176, 0xbf6f5d39, v172
	v_mul_f32_e32 v186, 0xbf6f5d39, v188
	;; [unrolled: 1-line block ×4, first 2 shown]
	ds_store_2addr_b64 v212, v[40:41], v[38:39] offset0:40 offset1:44
	v_mul_f32_e32 v38, v65, v23
	v_mul_f32_e32 v39, v64, v23
	v_fma_f32 v40, 0x3f116cb1, v51, -v162
	v_fmac_f32_e32 v196, 0x3df6dbef, v42
	v_fma_f32 v68, 0xbeb58ec6, v51, -v186
	v_fma_f32 v38, v64, v22, -v38
	v_add_f32_e32 v64, v57, v36
	v_fmac_f32_e32 v39, v65, v22
	v_add_f32_e32 v30, v196, v30
	s_delay_alu instid0(VALU_DEP_4) | instskip(NEXT) | instid1(VALU_DEP_3)
	v_dual_mul_f32 v178, 0xbe750f2a, v175 :: v_dual_add_f32 v31, v156, v38
	v_dual_sub_f32 v189, v156, v38 :: v_dual_sub_f32 v174, v161, v39
	s_delay_alu instid0(VALU_DEP_3) | instskip(SKIP_1) | instid1(VALU_DEP_3)
	v_dual_add_f32 v30, v234, v30 :: v_dual_add_f32 v67, v161, v39
	v_add_f32_e32 v42, v52, v35
	v_mul_f32_e32 v166, 0xbeedf032, v189
	s_delay_alu instid0(VALU_DEP_4) | instskip(NEXT) | instid1(VALU_DEP_4)
	v_mul_f32_e32 v150, 0xbeedf032, v174
	v_add_f32_e32 v30, v236, v30
	v_mul_f32_e32 v177, 0xbf52af12, v174
	v_mul_f32_e32 v187, 0xbf52af12, v189
	v_mul_f32_e32 v184, 0x3f7e222b, v190
	v_fmamk_f32 v26, v31, 0x3f62ad3f, v150
	v_add_f32_e32 v28, v238, v30
	v_add_f32_e32 v30, v54, v32
	v_lshrrev_b32_e32 v211, 2, v148
	s_delay_alu instid0(VALU_DEP_2) | instskip(NEXT) | instid1(VALU_DEP_1)
	v_dual_add_f32 v26, v24, v26 :: v_dual_fmamk_f32 v27, v30, 0x3f116cb1, v149
	v_add_f32_e32 v26, v27, v26
	v_fma_f32 v27, 0x3f62ad3f, v67, -v166
	s_delay_alu instid0(VALU_DEP_1) | instskip(NEXT) | instid1(VALU_DEP_1)
	v_add_f32_e32 v27, v25, v27
	v_dual_add_f32 v27, v40, v27 :: v_dual_add_f32 v40, v53, v34
	s_delay_alu instid0(VALU_DEP_1) | instskip(NEXT) | instid1(VALU_DEP_1)
	v_fmamk_f32 v41, v40, 0x3df6dbef, v157
	v_add_f32_e32 v26, v41, v26
	v_fma_f32 v41, 0x3df6dbef, v64, -v163
	s_delay_alu instid0(VALU_DEP_1) | instskip(SKIP_1) | instid1(VALU_DEP_1)
	v_add_f32_e32 v27, v41, v27
	v_fmamk_f32 v41, v42, 0xbeb58ec6, v158
	v_add_f32_e32 v26, v41, v26
	v_fma_f32 v41, 0xbeb58ec6, v66, -v164
	s_delay_alu instid0(VALU_DEP_1) | instskip(SKIP_3) | instid1(VALU_DEP_1)
	v_add_f32_e32 v27, v41, v27
	v_add_f32_e32 v41, v47, v44
	ds_store_b64 v212, v[28:29] offset:384
	v_fmamk_f32 v43, v41, 0xbf3f9e67, v159
	v_add_f32_e32 v26, v43, v26
	v_fma_f32 v43, 0xbf3f9e67, v59, -v165
	s_delay_alu instid0(VALU_DEP_1) | instskip(SKIP_1) | instid1(VALU_DEP_1)
	v_add_f32_e32 v27, v43, v27
	v_add_f32_e32 v43, v46, v45
	v_fmamk_f32 v65, v43, 0xbf788fa5, v160
	s_delay_alu instid0(VALU_DEP_1) | instskip(SKIP_1) | instid1(VALU_DEP_1)
	v_add_f32_e32 v145, v65, v26
	v_add_f32_e32 v65, v50, v49
	v_fma_f32 v26, 0xbf788fa5, v65, -v167
	v_fma_f32 v69, 0x3f62ad3f, v65, -v181
	s_delay_alu instid0(VALU_DEP_2) | instskip(SKIP_1) | instid1(VALU_DEP_1)
	v_add_f32_e32 v146, v26, v27
	v_fmamk_f32 v26, v31, 0x3f116cb1, v177
	v_dual_fmamk_f32 v27, v30, 0xbeb58ec6, v176 :: v_dual_add_f32 v26, v24, v26
	s_delay_alu instid0(VALU_DEP_1) | instskip(SKIP_1) | instid1(VALU_DEP_1)
	v_add_f32_e32 v26, v27, v26
	v_fma_f32 v27, 0x3f116cb1, v67, -v187
	v_add_f32_e32 v27, v25, v27
	s_delay_alu instid0(VALU_DEP_1) | instskip(SKIP_1) | instid1(VALU_DEP_1)
	v_add_f32_e32 v27, v68, v27
	v_fmamk_f32 v68, v40, 0xbf788fa5, v178
	v_add_f32_e32 v26, v68, v26
	v_fma_f32 v68, 0xbf788fa5, v64, -v182
	s_delay_alu instid0(VALU_DEP_1) | instskip(NEXT) | instid1(VALU_DEP_1)
	v_dual_add_f32 v27, v68, v27 :: v_dual_fmamk_f32 v68, v42, 0xbf3f9e67, v179
	v_add_f32_e32 v26, v68, v26
	v_fma_f32 v68, 0xbf3f9e67, v66, -v183
	s_delay_alu instid0(VALU_DEP_1) | instskip(NEXT) | instid1(VALU_DEP_1)
	v_dual_add_f32 v27, v68, v27 :: v_dual_mul_f32 v180, 0x3f7e222b, v170
	v_fmamk_f32 v68, v41, 0x3df6dbef, v180
	s_delay_alu instid0(VALU_DEP_1) | instskip(SKIP_1) | instid1(VALU_DEP_1)
	v_add_f32_e32 v26, v68, v26
	v_fma_f32 v68, 0x3df6dbef, v59, -v184
	v_dual_add_f32 v27, v68, v27 :: v_dual_fmamk_f32 v68, v43, 0x3f62ad3f, v168
	s_delay_alu instid0(VALU_DEP_1)
	v_dual_add_f32 v27, v69, v27 :: v_dual_add_f32 v26, v68, v26
	s_and_saveexec_b32 s2, vcc_lo
	s_cbranch_execz .LBB0_5
; %bb.4:
	v_dual_mul_f32 v81, 0xbeb58ec6, v30 :: v_dual_mul_f32 v74, 0xbeb58ec6, v67
	v_dual_mul_f32 v76, 0xbf3f9e67, v51 :: v_dual_mul_f32 v201, 0xbf3f9e67, v66
	v_mul_f32_e32 v223, 0x3e750f2a, v170
	v_dual_mul_f32 v82, 0x3f62ad3f, v31 :: v_dual_mul_f32 v77, 0x3f62ad3f, v64
	s_delay_alu instid0(VALU_DEP_4) | instskip(SKIP_1) | instid1(VALU_DEP_4)
	v_fmamk_f32 v28, v189, 0x3f6f5d39, v74
	v_mul_f32_e32 v79, 0x3f116cb1, v67
	v_fmamk_f32 v226, v41, 0xbf788fa5, v223
	v_fmamk_f32 v29, v188, 0xbf29c268, v76
	v_mul_f32_e32 v225, 0xbf3f9e67, v64
	v_dual_add_f32 v28, v25, v28 :: v_dual_mul_f32 v199, 0xbeb58ec6, v66
	v_mul_f32_e32 v218, 0x3f29c268, v172
	v_mul_f32_e32 v202, 0xbf3f9e67, v41
	v_mul_f32_e32 v72, 0xbf788fa5, v67
	s_delay_alu instid0(VALU_DEP_4) | instskip(NEXT) | instid1(VALU_DEP_4)
	v_dual_add_f32 v28, v29, v28 :: v_dual_mul_f32 v215, 0xbf6f5d39, v174
	v_fmamk_f32 v69, v30, 0xbf3f9e67, v218
	v_mul_f32_e32 v75, 0x3f62ad3f, v51
	s_delay_alu instid0(VALU_DEP_4) | instskip(SKIP_3) | instid1(VALU_DEP_4)
	v_fmamk_f32 v73, v189, 0x3e750f2a, v72
	v_mul_f32_e32 v216, 0xbf788fa5, v59
	v_fmamk_f32 v68, v31, 0xbeb58ec6, v215
	v_fmamk_f32 v29, v191, 0xbeedf032, v77
	v_dual_mul_f32 v220, 0x3eedf032, v175 :: v_dual_add_f32 v73, v25, v73
	v_fmamk_f32 v224, v188, 0xbeedf032, v75
	s_delay_alu instid0(VALU_DEP_4) | instskip(SKIP_4) | instid1(VALU_DEP_4)
	v_add_f32_e32 v68, v24, v68
	v_mul_f32_e32 v206, 0x3df6dbef, v66
	v_dual_add_f32 v28, v29, v28 :: v_dual_mul_f32 v227, 0xbeb58ec6, v59
	v_mul_f32_e32 v222, 0xbf7e222b, v173
	v_dual_mul_f32 v148, 0x3f116cb1, v51 :: v_dual_mul_f32 v221, 0x3f116cb1, v65
	v_fmamk_f32 v29, v192, 0x3f7e222b, v206
	v_mul_f32_e32 v217, 0x3f62ad3f, v43
	v_fmamk_f32 v231, v190, 0x3f6f5d39, v227
	v_mul_f32_e32 v230, 0x3eedf032, v172
	v_mul_f32_e32 v234, 0xbf6f5d39, v170
	v_dual_add_f32 v28, v29, v28 :: v_dual_fmamk_f32 v29, v190, 0xbe750f2a, v216
	v_fma_f32 v215, 0xbeb58ec6, v31, -v215
	v_fmac_f32_e32 v74, 0xbf6f5d39, v189
	v_fmac_f32_e32 v76, 0x3f29c268, v188
	v_dual_mul_f32 v238, 0x3eedf032, v170 :: v_dual_fmac_f32 v77, 0x3eedf032, v191
	v_add_f32_e32 v28, v29, v28
	v_dual_add_f32 v29, v69, v68 :: v_dual_fmamk_f32 v68, v40, 0x3f62ad3f, v220
	v_fmac_f32_e32 v206, 0xbf7e222b, v192
	v_dual_mul_f32 v78, 0x3f116cb1, v31 :: v_dual_mul_f32 v83, 0x3f116cb1, v30
	v_dual_mul_f32 v80, 0x3f62ad3f, v67 :: v_dual_mul_f32 v219, 0x3f62ad3f, v65
	s_delay_alu instid0(VALU_DEP_4) | instskip(SKIP_3) | instid1(VALU_DEP_3)
	v_dual_add_f32 v29, v68, v29 :: v_dual_fmamk_f32 v68, v42, 0x3df6dbef, v222
	v_fmamk_f32 v69, v185, 0xbf52af12, v221
	v_dual_mul_f32 v200, 0xbf3f9e67, v42 :: v_dual_mul_f32 v203, 0xbf3f9e67, v59
	v_fmac_f32_e32 v216, 0x3e750f2a, v190
	v_dual_add_f32 v68, v68, v29 :: v_dual_add_f32 v29, v69, v28
	v_dual_add_f32 v28, v224, v73 :: v_dual_fmamk_f32 v69, v191, 0x3f29c268, v225
	s_delay_alu instid0(VALU_DEP_2) | instskip(SKIP_2) | instid1(VALU_DEP_4)
	v_dual_mul_f32 v73, 0x3f116cb1, v66 :: v_dual_add_f32 v68, v226, v68
	v_mul_f32_e32 v224, 0x3f52af12, v171
	v_mul_f32_e32 v226, 0xbe750f2a, v174
	v_add_f32_e32 v28, v69, v28
	v_add_f32_e32 v74, v25, v74
	v_sub_f32_e32 v78, v78, v177
	v_dual_add_f32 v161, v25, v161 :: v_dual_add_f32 v80, v166, v80
	v_fmamk_f32 v229, v31, 0xbf788fa5, v226
	v_fmac_f32_e32 v72, 0xbe750f2a, v189
	v_fmamk_f32 v69, v192, 0xbf52af12, v73
	v_fma_f32 v226, 0xbf788fa5, v31, -v226
	v_fmac_f32_e32 v73, 0x3f52af12, v192
	v_fmamk_f32 v228, v43, 0x3f116cb1, v224
	v_add_f32_e32 v72, v25, v72
	v_dual_add_f32 v69, v69, v28 :: v_dual_add_f32 v74, v76, v74
	v_mul_f32_e32 v236, 0x3e750f2a, v173
	s_delay_alu instid0(VALU_DEP_4)
	v_add_f32_e32 v28, v228, v68
	v_add_f32_e32 v68, v24, v229
	v_fmamk_f32 v228, v30, 0x3f62ad3f, v230
	v_mul_f32_e32 v229, 0xbf29c268, v175
	v_fmac_f32_e32 v75, 0x3eedf032, v188
	v_dual_mul_f32 v196, 0xbf788fa5, v40 :: v_dual_mul_f32 v213, 0xbf788fa5, v43
	s_delay_alu instid0(VALU_DEP_4) | instskip(NEXT) | instid1(VALU_DEP_4)
	v_add_f32_e32 v68, v228, v68
	v_fmamk_f32 v228, v40, 0xbf3f9e67, v229
	s_delay_alu instid0(VALU_DEP_4) | instskip(SKIP_1) | instid1(VALU_DEP_3)
	v_dual_add_f32 v72, v75, v72 :: v_dual_fmamk_f32 v75, v41, 0xbeb58ec6, v234
	v_fmac_f32_e32 v225, 0xbf29c268, v191
	v_dual_add_f32 v69, v231, v69 :: v_dual_add_f32 v68, v228, v68
	v_mul_f32_e32 v231, 0x3df6dbef, v65
	s_delay_alu instid0(VALU_DEP_3) | instskip(SKIP_2) | instid1(VALU_DEP_4)
	v_dual_fmac_f32 v227, 0xbf6f5d39, v190 :: v_dual_add_f32 v72, v225, v72
	v_fma_f32 v225, 0x3f62ad3f, v30, -v230
	v_mul_f32_e32 v230, 0xbf29c268, v189
	v_fmamk_f32 v233, v185, 0xbf7e222b, v231
	s_delay_alu instid0(VALU_DEP_4) | instskip(SKIP_3) | instid1(VALU_DEP_4)
	v_dual_fmac_f32 v231, 0x3f7e222b, v185 :: v_dual_add_f32 v72, v73, v72
	v_dual_mul_f32 v189, 0xbf7e222b, v189 :: v_dual_add_f32 v74, v77, v74
	v_add_f32_e32 v77, v24, v215
	v_fma_f32 v215, 0xbf3f9e67, v30, -v218
	v_add_f32_e32 v72, v227, v72
	v_mul_f32_e32 v232, 0x3f52af12, v173
	v_add_f32_e32 v69, v233, v69
	v_mul_f32_e32 v233, 0x3e750f2a, v192
	v_add_f32_e32 v77, v215, v77
	v_fma_f32 v215, 0x3f62ad3f, v40, -v220
	v_fmamk_f32 v228, v42, 0x3f116cb1, v232
	v_mul_f32_e32 v192, 0x3eedf032, v192
	v_add_f32_e32 v78, v24, v78
	s_delay_alu instid0(VALU_DEP_4) | instskip(NEXT) | instid1(VALU_DEP_4)
	v_dual_add_f32 v156, v24, v156 :: v_dual_add_f32 v77, v215, v77
	v_add_f32_e32 v68, v228, v68
	v_mul_f32_e32 v228, 0x3f7e222b, v171
	v_fma_f32 v215, 0x3df6dbef, v42, -v222
	v_dual_add_f32 v58, v161, v58 :: v_dual_mul_f32 v193, 0xbeb58ec6, v51
	v_mul_f32_e32 v198, 0xbeb58ec6, v42
	v_dual_add_f32 v68, v75, v68 :: v_dual_add_f32 v75, v24, v226
	v_fmamk_f32 v226, v43, 0x3df6dbef, v228
	v_fma_f32 v228, 0x3df6dbef, v43, -v228
	v_sub_f32_e32 v81, v81, v176
	v_add_f32_e32 v79, v187, v79
	v_add_f32_e32 v73, v225, v75
	v_fma_f32 v75, 0xbf3f9e67, v40, -v229
	v_add_f32_e32 v68, v226, v68
	v_mul_f32_e32 v226, 0x3f7e222b, v188
	v_mul_f32_e32 v229, 0xbf52af12, v191
	;; [unrolled: 1-line block ×3, first 2 shown]
	v_add_f32_e32 v73, v75, v73
	v_fma_f32 v75, 0x3f116cb1, v42, -v232
	v_fma_f32 v232, 0xbeb58ec6, v41, -v234
	v_mul_f32_e32 v234, 0x3f7e222b, v172
	v_add_f32_e32 v206, v206, v74
	s_delay_alu instid0(VALU_DEP_4) | instskip(SKIP_3) | instid1(VALU_DEP_4)
	v_dual_mul_f32 v188, 0xbe750f2a, v188 :: v_dual_add_f32 v75, v75, v73
	v_add_f32_e32 v73, v231, v72
	v_mul_f32_e32 v231, 0xbf29c268, v174
	v_fmamk_f32 v225, v67, 0xbf3f9e67, v230
	v_dual_fmamk_f32 v227, v51, 0x3df6dbef, v226 :: v_dual_add_f32 v72, v232, v75
	v_add_f32_e32 v215, v215, v77
	s_delay_alu instid0(VALU_DEP_4) | instskip(NEXT) | instid1(VALU_DEP_4)
	v_fma_f32 v232, 0xbf3f9e67, v31, -v231
	v_dual_add_f32 v225, v25, v225 :: v_dual_add_f32 v206, v216, v206
	s_delay_alu instid0(VALU_DEP_4) | instskip(SKIP_1) | instid1(VALU_DEP_3)
	v_add_f32_e32 v72, v228, v72
	v_dual_fmamk_f32 v216, v51, 0xbf788fa5, v188 :: v_dual_add_f32 v79, v25, v79
	v_add_f32_e32 v225, v227, v225
	v_fmamk_f32 v227, v64, 0x3f116cb1, v229
	v_add_f32_e32 v228, v24, v232
	v_fma_f32 v232, 0x3df6dbef, v30, -v234
	v_dual_fmac_f32 v221, 0x3f52af12, v185 :: v_dual_add_f32 v78, v81, v78
	v_add_f32_e32 v57, v58, v57
	v_add_f32_e32 v75, v227, v225
	v_fmamk_f32 v225, v66, 0xbf788fa5, v233
	v_dual_mul_f32 v227, 0x3eedf032, v190 :: v_dual_add_f32 v228, v232, v228
	v_dual_mul_f32 v235, 0xbf52af12, v175 :: v_dual_mul_f32 v190, 0xbf52af12, v190
	s_delay_alu instid0(VALU_DEP_3) | instskip(NEXT) | instid1(VALU_DEP_3)
	v_add_f32_e32 v75, v225, v75
	v_fmamk_f32 v225, v59, 0x3f62ad3f, v227
	v_add_f32_e32 v77, v221, v206
	s_delay_alu instid0(VALU_DEP_4) | instskip(SKIP_1) | instid1(VALU_DEP_4)
	v_fma_f32 v232, 0x3f116cb1, v40, -v235
	v_dual_fmamk_f32 v220, v59, 0x3f116cb1, v190 :: v_dual_sub_f32 v81, v196, v178
	v_dual_add_f32 v75, v225, v75 :: v_dual_add_f32 v54, v156, v54
	s_delay_alu instid0(VALU_DEP_3) | instskip(SKIP_3) | instid1(VALU_DEP_3)
	v_add_f32_e32 v228, v232, v228
	v_fma_f32 v232, 0xbf788fa5, v42, -v236
	v_mul_f32_e32 v225, 0xbf6f5d39, v185
	v_dual_mul_f32 v197, 0xbf788fa5, v64 :: v_dual_mul_f32 v214, 0xbf788fa5, v65
	v_dual_mul_f32 v175, 0x3f6f5d39, v175 :: v_dual_add_f32 v76, v232, v228
	v_fma_f32 v228, 0x3f62ad3f, v41, -v238
	v_mul_f32_e32 v232, 0xbf6f5d39, v171
	v_dual_fmamk_f32 v237, v65, 0xbeb58ec6, v225 :: v_dual_add_f32 v186, v186, v193
	v_mul_f32_e32 v174, 0xbf7e222b, v174
	s_delay_alu instid0(VALU_DEP_4) | instskip(NEXT) | instid1(VALU_DEP_4)
	v_add_f32_e32 v76, v228, v76
	v_fma_f32 v218, 0xbeb58ec6, v43, -v232
	v_dual_add_f32 v78, v81, v78 :: v_dual_add_f32 v53, v54, v53
	v_dual_add_f32 v54, v57, v56 :: v_dual_mul_f32 v185, 0xbf29c268, v185
	s_delay_alu instid0(VALU_DEP_3)
	v_add_f32_e32 v74, v218, v76
	v_fmamk_f32 v76, v67, 0x3df6dbef, v189
	v_fma_f32 v218, 0xbf788fa5, v41, -v223
	v_add_f32_e32 v79, v186, v79
	v_add_f32_e32 v182, v182, v197
	v_mul_f32_e32 v172, 0xbe750f2a, v172
	v_add_f32_e32 v76, v25, v76
	v_dual_add_f32 v206, v218, v215 :: v_dual_mul_f32 v173, 0x3eedf032, v173
	v_fmamk_f32 v215, v66, 0x3f62ad3f, v192
	v_fma_f32 v218, 0x3df6dbef, v31, -v174
	s_delay_alu instid0(VALU_DEP_4) | instskip(SKIP_3) | instid1(VALU_DEP_3)
	v_add_f32_e32 v76, v216, v76
	v_fmamk_f32 v216, v64, 0xbeb58ec6, v191
	v_sub_f32_e32 v168, v217, v168
	v_dual_add_f32 v52, v53, v52 :: v_dual_add_f32 v53, v54, v55
	v_dual_fmamk_f32 v193, v65, 0xbf3f9e67, v185 :: v_dual_add_f32 v76, v216, v76
	v_fma_f32 v216, 0x3f116cb1, v43, -v224
	v_add_f32_e32 v79, v182, v79
	s_delay_alu instid0(VALU_DEP_4) | instskip(NEXT) | instid1(VALU_DEP_3)
	v_dual_add_f32 v47, v52, v47 :: v_dual_add_f32 v50, v53, v50
	v_dual_add_f32 v215, v215, v76 :: v_dual_add_f32 v76, v216, v206
	v_dual_add_f32 v206, v24, v218 :: v_dual_mul_f32 v171, 0xbf29c268, v171
	v_fma_f32 v216, 0xbf788fa5, v30, -v172
	v_dual_mul_f32 v195, 0x3df6dbef, v64 :: v_dual_mul_f32 v204, 0x3df6dbef, v41
	v_dual_sub_f32 v81, v200, v179 :: v_dual_add_f32 v46, v47, v46
	s_delay_alu instid0(VALU_DEP_3)
	v_add_f32_e32 v187, v216, v206
	v_fma_f32 v206, 0xbeb58ec6, v40, -v175
	v_add_f32_e32 v47, v50, v49
	v_fma_f32 v177, 0x3f62ad3f, v42, -v173
	v_add_f32_e32 v179, v181, v219
	v_dual_add_f32 v181, v81, v78 :: v_dual_sub_f32 v180, v204, v180
	v_add_f32_e32 v187, v206, v187
	v_dual_sub_f32 v58, v82, v150 :: v_dual_add_f32 v47, v47, v48
	v_fmac_f32_e32 v236, 0xbf788fa5, v42
	v_add_f32_e32 v46, v46, v45
	v_dual_mul_f32 v194, 0x3df6dbef, v40 :: v_dual_mul_f32 v205, 0x3df6dbef, v59
	v_dual_add_f32 v176, v177, v187 :: v_dual_add_f32 v177, v183, v201
	v_dual_add_f32 v166, v180, v181 :: v_dual_add_f32 v161, v25, v80
	v_add_f32_e32 v148, v162, v148
	v_dual_add_f32 v56, v24, v58 :: v_dual_add_f32 v37, v47, v37
	v_dual_add_f32 v44, v46, v44 :: v_dual_fmac_f32 v173, 0x3f62ad3f, v42
	v_fma_f32 v46, 0xbf3f9e67, v67, -v230
	v_dual_add_f32 v75, v237, v75 :: v_dual_mul_f32 v170, 0xbf52af12, v170
	v_add_f32_e32 v79, v177, v79
	v_add_f32_e32 v177, v184, v205
	v_dual_add_f32 v82, v148, v161 :: v_dual_sub_f32 v49, v198, v158
	v_add_f32_e32 v148, v163, v195
	v_add_f32_e32 v54, v164, v199
	v_dual_add_f32 v35, v44, v35 :: v_dual_add_f32 v36, v37, v36
	v_add_f32_e32 v37, v25, v46
	v_fma_f32 v46, 0x3df6dbef, v51, -v226
	v_fma_f32 v182, 0x3f116cb1, v41, -v170
	v_dual_add_f32 v177, v177, v79 :: v_dual_add_f32 v58, v148, v82
	v_fmac_f32_e32 v231, 0xbf3f9e67, v31
	v_fmac_f32_e32 v238, 0x3f62ad3f, v41
	v_dual_add_f32 v34, v35, v34 :: v_dual_add_f32 v35, v46, v37
	v_add_f32_e32 v33, v36, v33
	v_fma_f32 v36, 0x3f116cb1, v64, -v229
	v_add_f32_e32 v215, v220, v215
	v_fma_f32 v178, 0xbf3f9e67, v43, -v171
	v_dual_add_f32 v81, v179, v177 :: v_dual_add_f32 v176, v182, v176
	s_delay_alu instid0(VALU_DEP_4) | instskip(SKIP_1) | instid1(VALU_DEP_3)
	v_dual_add_f32 v52, v54, v58 :: v_dual_add_f32 v35, v36, v35
	v_fma_f32 v36, 0xbf788fa5, v66, -v233
	v_dual_add_f32 v79, v193, v215 :: v_dual_add_f32 v78, v178, v176
	v_dual_sub_f32 v57, v83, v149 :: v_dual_add_f32 v80, v168, v166
	s_delay_alu instid0(VALU_DEP_3) | instskip(SKIP_2) | instid1(VALU_DEP_4)
	v_add_f32_e32 v35, v36, v35
	v_fma_f32 v36, 0x3f62ad3f, v59, -v227
	v_dual_add_f32 v32, v34, v32 :: v_dual_fmac_f32 v171, 0xbf3f9e67, v43
	v_dual_add_f32 v55, v57, v56 :: v_dual_sub_f32 v56, v194, v157
	v_dual_add_f32 v33, v33, v39 :: v_dual_fmac_f32 v234, 0x3df6dbef, v30
	v_fmac_f32_e32 v172, 0xbf788fa5, v30
	v_add_f32_e32 v30, v36, v35
	v_fma_f32 v35, 0xbeb58ec6, v65, -v225
	v_add_f32_e32 v34, v24, v231
	v_add_f32_e32 v53, v165, v203
	v_dual_add_f32 v54, v56, v55 :: v_dual_fmac_f32 v235, 0x3f116cb1, v40
	v_fma_f32 v37, 0x3df6dbef, v67, -v189
	s_delay_alu instid0(VALU_DEP_4) | instskip(NEXT) | instid1(VALU_DEP_4)
	v_add_f32_e32 v34, v234, v34
	v_add_f32_e32 v50, v53, v52
	;; [unrolled: 1-line block ×3, first 2 shown]
	s_delay_alu instid0(VALU_DEP_4) | instskip(NEXT) | instid1(VALU_DEP_4)
	v_dual_fmac_f32 v174, 0x3df6dbef, v31 :: v_dual_add_f32 v25, v25, v37
	v_add_f32_e32 v31, v235, v34
	v_fma_f32 v34, 0xbf788fa5, v51, -v188
	v_dual_add_f32 v48, v49, v54 :: v_dual_sub_f32 v49, v202, v159
	s_delay_alu instid0(VALU_DEP_4) | instskip(NEXT) | instid1(VALU_DEP_3)
	v_dual_add_f32 v24, v24, v174 :: v_dual_fmac_f32 v175, 0xbeb58ec6, v40
	v_add_f32_e32 v25, v34, v25
	v_fma_f32 v34, 0xbeb58ec6, v64, -v191
	s_delay_alu instid0(VALU_DEP_4)
	v_add_f32_e32 v47, v49, v48
	v_sub_f32_e32 v48, v213, v160
	v_add_f32_e32 v24, v172, v24
	v_add_f32_e32 v31, v236, v31
	;; [unrolled: 1-line block ×3, first 2 shown]
	v_fma_f32 v34, 0x3f62ad3f, v66, -v192
	v_add_f32_e32 v44, v48, v47
	v_add_f32_e32 v24, v175, v24
	v_fma_f32 v36, 0x3f116cb1, v59, -v190
	v_fmac_f32_e32 v170, 0x3f116cb1, v41
	v_add_f32_e32 v25, v34, v25
	v_mul_u32_u24_e32 v34, 52, v211
	v_dual_add_f32 v24, v173, v24 :: v_dual_add_f32 v31, v238, v31
	v_dual_fmac_f32 v232, 0xbeb58ec6, v43 :: v_dual_add_f32 v45, v52, v50
	s_delay_alu instid0(VALU_DEP_3)
	v_or_b32_e32 v34, v34, v210
	v_add_f32_e32 v36, v36, v25
	v_fma_f32 v37, 0xbf3f9e67, v65, -v185
	v_add_f32_e32 v32, v32, v38
	v_add_f32_e32 v38, v170, v24
	v_lshlrev_b32_e32 v34, 3, v34
	v_dual_add_f32 v25, v35, v30 :: v_dual_add_f32 v24, v232, v31
	s_delay_alu instid0(VALU_DEP_3)
	v_dual_add_f32 v31, v37, v36 :: v_dual_add_f32 v30, v171, v38
	ds_store_2addr_b64 v34, v[32:33], v[44:45] offset1:4
	ds_store_2addr_b64 v34, v[80:81], v[78:79] offset0:8 offset1:12
	ds_store_2addr_b64 v34, v[76:77], v[74:75] offset0:16 offset1:20
	;; [unrolled: 1-line block ×5, first 2 shown]
	ds_store_b64 v34, v[145:146] offset:384
.LBB0_5:
	s_wait_alu 0xfffe
	s_or_b32 exec_lo, exec_lo, s2
	v_and_b32_e32 v24, 0xffff, v147
	v_lshlrev_b32_e32 v52, 3, v208
	global_wb scope:SCOPE_SE
	s_wait_dscnt 0x0
	s_barrier_signal -1
	s_barrier_wait -1
	v_mul_u32_u24_e32 v24, 0x4ec5, v24
	global_inv scope:SCOPE_SE
	v_add_nc_u32_e32 v232, 0x1c00, v209
	v_add_nc_u32_e32 v231, 0xc00, v209
	v_lshrrev_b32_e32 v24, 20, v24
	s_delay_alu instid0(VALU_DEP_1) | instskip(NEXT) | instid1(VALU_DEP_1)
	v_mul_lo_u16 v24, v24, 52
	v_sub_nc_u16 v24, v147, v24
	s_delay_alu instid0(VALU_DEP_1) | instskip(NEXT) | instid1(VALU_DEP_1)
	v_and_b32_e32 v24, 0xffff, v24
	v_lshlrev_b32_e32 v213, 3, v24
	s_clause 0x1
	global_load_b64 v[149:150], v52, s[10:11] offset:400
	global_load_b64 v[147:148], v213, s[10:11] offset:400
	v_add_nc_u32_e32 v227, 0x1000, v209
	ds_load_2addr_b64 v[28:31], v227 offset0:112 offset1:164
	s_wait_loadcnt_dscnt 0x100
	v_mul_f32_e32 v24, v29, v150
	v_mul_f32_e32 v25, v28, v150
	;; [unrolled: 1-line block ×3, first 2 shown]
	s_delay_alu instid0(VALU_DEP_3) | instskip(NEXT) | instid1(VALU_DEP_3)
	v_fma_f32 v24, v28, v149, -v24
	v_dual_mul_f32 v28, v31, v150 :: v_dual_fmac_f32 v25, v29, v149
	s_delay_alu instid0(VALU_DEP_1) | instskip(NEXT) | instid1(VALU_DEP_4)
	v_fma_f32 v32, v30, v149, -v28
	v_fmac_f32_e32 v33, v31, v149
	ds_load_2addr_b64 v[28:31], v209 offset1:52
	s_wait_dscnt 0x0
	v_dual_sub_f32 v68, v30, v32 :: v_dual_sub_f32 v69, v31, v33
	v_dual_sub_f32 v57, v28, v24 :: v_dual_sub_f32 v58, v29, v25
	v_and_b32_e32 v24, 0xff, v155
	v_and_b32_e32 v25, 0xff, v153
	s_delay_alu instid0(VALU_DEP_4)
	v_fma_f32 v75, v31, 2.0, -v69
	v_and_b32_e32 v31, 0xffff, v95
	v_fma_f32 v72, v28, 2.0, -v57
	v_fma_f32 v73, v29, 2.0, -v58
	;; [unrolled: 1-line block ×3, first 2 shown]
	v_mul_lo_u16 v24, 0x4f, v24
	v_mul_u32_u24_e32 v39, 0x4ec5, v31
	v_and_b32_e32 v31, 0xffff, v94
	v_and_b32_e32 v28, 0xffff, v154
	v_and_b32_e32 v29, 0xffff, v152
	v_and_b32_e32 v30, 0xffff, v151
	v_mul_lo_u16 v25, 0x4f, v25
	v_mul_u32_u24_e32 v38, 0x4ec5, v31
	v_and_b32_e32 v31, 0xffff, v93
	v_lshrrev_b16 v24, 12, v24
	v_mul_u32_u24_e32 v28, 0x4ec5, v28
	v_mul_u32_u24_e32 v29, 0x4ec5, v29
	;; [unrolled: 1-line block ×4, first 2 shown]
	v_and_b32_e32 v31, 0xffff, v92
	v_lshrrev_b16 v25, 12, v25
	v_lshrrev_b32_e32 v32, 20, v38
	v_mul_lo_u16 v24, v24, 52
	v_lshrrev_b32_e32 v33, 20, v37
	v_mul_u32_u24_e32 v36, 0x4ec5, v31
	v_lshrrev_b32_e32 v31, 20, v39
	v_lshrrev_b32_e32 v28, 20, v28
	;; [unrolled: 1-line block ×5, first 2 shown]
	v_mul_lo_u16 v25, v25, 52
	v_mul_lo_u16 v31, v31, 52
	;; [unrolled: 1-line block ×4, first 2 shown]
	v_sub_nc_u16 v24, v155, v24
	v_mul_lo_u16 v28, v28, 52
	v_mul_lo_u16 v29, v29, 52
	;; [unrolled: 1-line block ×4, first 2 shown]
	v_sub_nc_u16 v25, v153, v25
	v_sub_nc_u16 v31, v95, v31
	;; [unrolled: 1-line block ×8, first 2 shown]
	v_and_b32_e32 v24, 0xff, v24
	v_and_b32_e32 v25, 0xff, v25
	;; [unrolled: 1-line block ×9, first 2 shown]
	v_lshlrev_b32_e32 v222, 3, v24
	v_lshlrev_b32_e32 v221, 3, v25
	;; [unrolled: 1-line block ×9, first 2 shown]
	s_clause 0x8
	global_load_b64 v[167:168], v222, s[10:11] offset:400
	global_load_b64 v[165:166], v221, s[10:11] offset:400
	;; [unrolled: 1-line block ×9, first 2 shown]
	v_add_nc_u32_e32 v25, 0x1400, v209
	v_add_nc_u32_e32 v229, 0x400, v209
	;; [unrolled: 1-line block ×5, first 2 shown]
	ds_load_2addr_b64 v[28:31], v25 offset0:88 offset1:140
	ds_load_2addr_b64 v[32:35], v209 offset0:104 offset1:156
	;; [unrolled: 1-line block ×10, first 2 shown]
	global_wb scope:SCOPE_SE
	s_wait_loadcnt_dscnt 0x0
	s_barrier_signal -1
	s_barrier_wait -1
	global_inv scope:SCOPE_SE
	ds_store_2addr_b64 v209, v[72:73], v[57:58] offset1:52
	ds_store_2addr_b64 v209, v[74:75], v[68:69] offset0:104 offset1:156
	v_lshrrev_b32_e32 v37, 21, v37
	v_lshrrev_b32_e32 v39, 21, v39
	;; [unrolled: 1-line block ×4, first 2 shown]
	s_delay_alu instid0(VALU_DEP_4) | instskip(NEXT) | instid1(VALU_DEP_4)
	v_mul_lo_u16 v37, 0x68, v37
	v_mul_lo_u16 v39, 0x68, v39
	s_delay_alu instid0(VALU_DEP_4) | instskip(NEXT) | instid1(VALU_DEP_4)
	v_mul_lo_u16 v38, 0x68, v38
	v_mul_lo_u16 v36, 0x68, v36
	s_delay_alu instid0(VALU_DEP_4) | instskip(NEXT) | instid1(VALU_DEP_4)
	v_sub_nc_u16 v77, v93, v37
	v_sub_nc_u16 v75, v95, v39
	s_delay_alu instid0(VALU_DEP_4) | instskip(NEXT) | instid1(VALU_DEP_4)
	v_sub_nc_u16 v76, v94, v38
	v_sub_nc_u16 v78, v92, v36
	s_delay_alu instid0(VALU_DEP_3) | instskip(SKIP_2) | instid1(VALU_DEP_2)
	v_lshlrev_b16 v36, 4, v75
	v_mul_f32_e32 v57, v29, v168
	v_mul_f32_e32 v58, v28, v168
	v_fma_f32 v57, v28, v167, -v57
	s_delay_alu instid0(VALU_DEP_2) | instskip(NEXT) | instid1(VALU_DEP_1)
	v_fmac_f32_e32 v58, v29, v167
	v_dual_sub_f32 v28, v32, v57 :: v_dual_sub_f32 v29, v33, v58
	v_add_nc_u32_e32 v57, 0x400, v222
	s_delay_alu instid0(VALU_DEP_2) | instskip(NEXT) | instid1(VALU_DEP_3)
	v_fma_f32 v32, v32, 2.0, -v28
	v_fma_f32 v33, v33, 2.0, -v29
	ds_store_2addr_b64 v57, v[32:33], v[28:29] offset0:80 offset1:132
	v_mul_f32_e32 v28, v31, v166
	v_dual_mul_f32 v29, v30, v166 :: v_dual_add_nc_u32 v32, 0x800, v221
	s_delay_alu instid0(VALU_DEP_2) | instskip(NEXT) | instid1(VALU_DEP_1)
	v_fma_f32 v28, v30, v165, -v28
	v_dual_fmac_f32 v29, v31, v165 :: v_dual_sub_f32 v28, v34, v28
	s_delay_alu instid0(VALU_DEP_1) | instskip(NEXT) | instid1(VALU_DEP_2)
	v_sub_f32_e32 v29, v35, v29
	v_fma_f32 v30, v34, 2.0, -v28
	s_delay_alu instid0(VALU_DEP_2) | instskip(SKIP_4) | instid1(VALU_DEP_3)
	v_fma_f32 v31, v35, 2.0, -v29
	ds_store_2addr_b64 v32, v[30:31], v[28:29] offset0:56 offset1:108
	v_mul_f32_e32 v28, v45, v164
	v_mul_f32_e32 v29, v44, v164
	v_add_nc_u32_e32 v32, 0x800, v220
	v_fma_f32 v28, v44, v163, -v28
	s_delay_alu instid0(VALU_DEP_1) | instskip(NEXT) | instid1(VALU_DEP_1)
	v_dual_fmac_f32 v29, v45, v163 :: v_dual_sub_f32 v28, v40, v28
	v_sub_f32_e32 v29, v41, v29
	s_delay_alu instid0(VALU_DEP_2) | instskip(NEXT) | instid1(VALU_DEP_2)
	v_fma_f32 v30, v40, 2.0, -v28
	v_fma_f32 v31, v41, 2.0, -v29
	ds_store_2addr_b64 v32, v[30:31], v[28:29] offset0:160 offset1:212
	v_mul_f32_e32 v28, v47, v162
	v_dual_mul_f32 v29, v46, v162 :: v_dual_add_nc_u32 v32, 0x1000, v219
	s_delay_alu instid0(VALU_DEP_2) | instskip(NEXT) | instid1(VALU_DEP_1)
	v_fma_f32 v28, v46, v161, -v28
	v_dual_fmac_f32 v29, v47, v161 :: v_dual_sub_f32 v28, v42, v28
	s_delay_alu instid0(VALU_DEP_1) | instskip(NEXT) | instid1(VALU_DEP_2)
	v_sub_f32_e32 v29, v43, v29
	v_fma_f32 v30, v42, 2.0, -v28
	s_delay_alu instid0(VALU_DEP_2) | instskip(SKIP_3) | instid1(VALU_DEP_2)
	v_fma_f32 v31, v43, 2.0, -v29
	ds_store_2addr_b64 v32, v[30:31], v[28:29] offset0:8 offset1:60
	v_mul_f32_e32 v28, v54, v160
	v_dual_mul_f32 v29, v53, v160 :: v_dual_add_nc_u32 v32, 0x1000, v218
	v_fma_f32 v28, v53, v159, -v28
	s_delay_alu instid0(VALU_DEP_1) | instskip(NEXT) | instid1(VALU_DEP_1)
	v_dual_fmac_f32 v29, v54, v159 :: v_dual_sub_f32 v28, v48, v28
	v_sub_f32_e32 v29, v49, v29
	s_delay_alu instid0(VALU_DEP_2) | instskip(NEXT) | instid1(VALU_DEP_2)
	v_fma_f32 v30, v48, 2.0, -v28
	v_fma_f32 v31, v49, 2.0, -v29
	ds_store_2addr_b64 v32, v[30:31], v[28:29] offset0:112 offset1:164
	v_mul_f32_e32 v28, v56, v158
	v_mul_f32_e32 v29, v55, v158
	s_delay_alu instid0(VALU_DEP_2) | instskip(NEXT) | instid1(VALU_DEP_1)
	v_fma_f32 v28, v55, v157, -v28
	v_dual_fmac_f32 v29, v56, v157 :: v_dual_sub_f32 v28, v50, v28
	s_delay_alu instid0(VALU_DEP_1) | instskip(SKIP_1) | instid1(VALU_DEP_3)
	v_sub_f32_e32 v29, v51, v29
	v_add_nc_u32_e32 v32, 0x1400, v217
	v_fma_f32 v30, v50, 2.0, -v28
	s_delay_alu instid0(VALU_DEP_3) | instskip(SKIP_4) | instid1(VALU_DEP_3)
	v_fma_f32 v31, v51, 2.0, -v29
	ds_store_2addr_b64 v32, v[30:31], v[28:29] offset0:88 offset1:140
	v_mul_f32_e32 v28, v171, v156
	v_mul_f32_e32 v29, v170, v156
	v_add_nc_u32_e32 v32, 0x1800, v216
	v_fma_f32 v28, v170, v155, -v28
	s_delay_alu instid0(VALU_DEP_1) | instskip(NEXT) | instid1(VALU_DEP_1)
	v_dual_fmac_f32 v29, v171, v155 :: v_dual_sub_f32 v28, v64, v28
	v_sub_f32_e32 v29, v65, v29
	s_delay_alu instid0(VALU_DEP_2) | instskip(NEXT) | instid1(VALU_DEP_2)
	v_fma_f32 v30, v64, 2.0, -v28
	v_fma_f32 v31, v65, 2.0, -v29
	ds_store_2addr_b64 v32, v[30:31], v[28:29] offset0:64 offset1:116
	v_mul_f32_e32 v28, v173, v154
	v_dual_mul_f32 v29, v172, v154 :: v_dual_add_nc_u32 v32, 0x1800, v215
	s_delay_alu instid0(VALU_DEP_2) | instskip(NEXT) | instid1(VALU_DEP_1)
	v_fma_f32 v28, v172, v153, -v28
	v_dual_fmac_f32 v29, v173, v153 :: v_dual_sub_f32 v28, v66, v28
	s_delay_alu instid0(VALU_DEP_1) | instskip(NEXT) | instid1(VALU_DEP_2)
	v_sub_f32_e32 v29, v67, v29
	v_fma_f32 v30, v66, 2.0, -v28
	s_delay_alu instid0(VALU_DEP_2) | instskip(SKIP_3) | instid1(VALU_DEP_2)
	v_fma_f32 v31, v67, 2.0, -v29
	ds_store_2addr_b64 v32, v[30:31], v[28:29] offset0:168 offset1:220
	v_mul_f32_e32 v28, v179, v152
	v_dual_mul_f32 v29, v178, v152 :: v_dual_add_nc_u32 v32, 0x2000, v214
	v_fma_f32 v28, v178, v151, -v28
	s_delay_alu instid0(VALU_DEP_1) | instskip(NEXT) | instid1(VALU_DEP_1)
	v_dual_fmac_f32 v29, v179, v151 :: v_dual_sub_f32 v28, v174, v28
	v_sub_f32_e32 v29, v175, v29
	s_delay_alu instid0(VALU_DEP_2) | instskip(NEXT) | instid1(VALU_DEP_2)
	v_fma_f32 v30, v174, 2.0, -v28
	v_fma_f32 v31, v175, 2.0, -v29
	ds_store_2addr_b64 v32, v[30:31], v[28:29] offset0:16 offset1:68
	v_mul_f32_e32 v28, v181, v148
	v_dual_mul_f32 v29, v180, v148 :: v_dual_add_nc_u32 v32, 0x2000, v213
	s_delay_alu instid0(VALU_DEP_2) | instskip(NEXT) | instid1(VALU_DEP_1)
	v_fma_f32 v28, v180, v147, -v28
	v_dual_fmac_f32 v29, v181, v147 :: v_dual_sub_f32 v28, v176, v28
	s_delay_alu instid0(VALU_DEP_1) | instskip(NEXT) | instid1(VALU_DEP_2)
	v_sub_f32_e32 v29, v177, v29
	v_fma_f32 v30, v176, 2.0, -v28
	s_delay_alu instid0(VALU_DEP_2)
	v_fma_f32 v31, v177, 2.0, -v29
	ds_store_2addr_b64 v32, v[30:31], v[28:29] offset0:120 offset1:172
	v_lshlrev_b32_e32 v28, 3, v169
	global_wb scope:SCOPE_SE
	s_wait_dscnt 0x0
	s_barrier_signal -1
	s_barrier_wait -1
	global_inv scope:SCOPE_SE
	s_clause 0x1
	global_load_b128 v[28:31], v28, s[10:11] offset:816
	global_load_b128 v[32:35], v84, s[10:11] offset:816
	ds_load_2addr_b64 v[40:43], v230 offset0:160 offset1:212
	ds_load_2addr_b64 v[53:56], v209 offset1:52
	v_and_b32_e32 v36, 0xffff, v36
	s_delay_alu instid0(VALU_DEP_1) | instskip(SKIP_3) | instid1(VALU_DEP_2)
	v_add_co_u32 v36, s2, s10, v36
	s_wait_loadcnt_dscnt 0x101
	v_mul_f32_e32 v44, v41, v29
	v_mul_f32_e32 v45, v40, v29
	v_fma_f32 v44, v40, v28, -v44
	s_wait_loadcnt 0x0
	s_delay_alu instid0(VALU_DEP_2) | instskip(SKIP_2) | instid1(VALU_DEP_2)
	v_dual_fmac_f32 v45, v41, v28 :: v_dual_mul_f32 v40, v43, v33
	v_mul_f32_e32 v72, v42, v33
	s_wait_dscnt 0x0
	v_add_f32_e32 v37, v54, v45
	s_delay_alu instid0(VALU_DEP_3) | instskip(NEXT) | instid1(VALU_DEP_3)
	v_fma_f32 v59, v42, v32, -v40
	v_fmac_f32_e32 v72, v43, v32
	ds_load_2addr_b64 v[40:43], v228 offset0:64 offset1:116
	s_wait_dscnt 0x0
	v_mul_f32_e32 v46, v41, v31
	v_mul_f32_e32 v74, v42, v35
	s_delay_alu instid0(VALU_DEP_2) | instskip(SKIP_1) | instid1(VALU_DEP_1)
	v_fma_f32 v46, v40, v30, -v46
	v_mul_f32_e32 v40, v40, v31
	v_dual_fmac_f32 v40, v41, v30 :: v_dual_mul_f32 v41, v43, v35
	s_delay_alu instid0(VALU_DEP_1) | instskip(SKIP_1) | instid1(VALU_DEP_3)
	v_add_f32_e32 v39, v45, v40
	v_sub_f32_e32 v38, v45, v40
	v_fma_f32 v73, v42, v34, -v41
	s_delay_alu instid0(VALU_DEP_3) | instskip(SKIP_3) | instid1(VALU_DEP_2)
	v_fma_f32 v54, -0.5, v39, v54
	v_add_f32_e32 v58, v37, v40
	v_dual_add_f32 v37, v53, v44 :: v_dual_sub_f32 v40, v44, v46
	v_fmac_f32_e32 v74, v43, v34
	v_add_f32_e32 v57, v37, v46
	v_add_f32_e32 v37, v44, v46
	s_delay_alu instid0(VALU_DEP_4) | instskip(SKIP_1) | instid1(VALU_DEP_3)
	v_fmamk_f32 v69, v40, 0xbf5db3d7, v54
	v_fmac_f32_e32 v54, 0x3f5db3d7, v40
	v_fma_f32 v53, -0.5, v37, v53
	v_lshlrev_b16 v37, 4, v76
	s_delay_alu instid0(VALU_DEP_2) | instskip(SKIP_1) | instid1(VALU_DEP_3)
	v_fmamk_f32 v68, v38, 0x3f5db3d7, v53
	v_fmac_f32_e32 v53, 0xbf5db3d7, v38
	v_and_b32_e32 v38, 0xffff, v37
	v_lshlrev_b16 v37, 4, v77
	s_delay_alu instid0(VALU_DEP_1) | instskip(SKIP_1) | instid1(VALU_DEP_1)
	v_and_b32_e32 v40, 0xffff, v37
	v_lshlrev_b16 v37, 4, v78
	v_and_b32_e32 v42, 0xffff, v37
	s_wait_alu 0xf1ff
	v_add_co_ci_u32_e64 v37, null, s11, 0, s2
	v_add_co_u32 v38, s2, s10, v38
	s_wait_alu 0xf1ff
	v_add_co_ci_u32_e64 v39, null, s11, 0, s2
	v_add_co_u32 v40, s2, s10, v40
	;; [unrolled: 3-line block ×3, first 2 shown]
	s_wait_alu 0xf1ff
	v_add_co_ci_u32_e64 v65, null, s11, 0, s2
	s_clause 0x3
	global_load_b128 v[48:51], v[36:37], off offset:816
	global_load_b128 v[44:47], v[38:39], off offset:816
	global_load_b128 v[40:43], v[40:41], off offset:816
	global_load_b128 v[36:39], v[64:65], off offset:816
	ds_load_2addr_b64 v[64:67], v209 offset0:104 offset1:156
	ds_load_2addr_b64 v[92:95], v227 offset0:8 offset1:60
	;; [unrolled: 1-line block ×9, first 2 shown]
	global_wb scope:SCOPE_SE
	s_wait_loadcnt_dscnt 0x0
	s_barrier_signal -1
	s_barrier_wait -1
	global_inv scope:SCOPE_SE
	ds_store_b64 v209, v[68:69] offset:832
	ds_store_b64 v209, v[53:54] offset:1664
	v_dual_add_f32 v53, v55, v59 :: v_dual_add_f32 v54, v56, v72
	s_add_nc_u64 s[2:3], s[8:9], 0x2700
	s_delay_alu instid0(VALU_DEP_1) | instskip(SKIP_4) | instid1(VALU_DEP_2)
	v_dual_add_f32 v53, v53, v73 :: v_dual_add_f32 v54, v54, v74
	v_mul_f32_e32 v69, v92, v29
	ds_store_2addr_b64 v209, v[57:58], v[53:54] offset1:52
	v_add_f32_e32 v53, v72, v74
	v_dual_sub_f32 v58, v72, v74 :: v_dual_fmac_f32 v69, v93, v28
	v_fmac_f32_e32 v56, -0.5, v53
	v_mul_f32_e32 v53, v93, v29
	s_delay_alu instid0(VALU_DEP_1) | instskip(SKIP_3) | instid1(VALU_DEP_3)
	v_fma_f32 v68, v92, v28, -v53
	v_dual_mul_f32 v53, v170, v31 :: v_dual_add_f32 v54, v59, v73
	v_sub_f32_e32 v59, v59, v73
	v_mul_f32_e32 v73, v169, v31
	v_fma_f32 v72, v169, v30, -v53
	v_add_f32_e32 v53, v64, v68
	v_fma_f32 v55, -0.5, v54, v55
	s_delay_alu instid0(VALU_DEP_4) | instskip(NEXT) | instid1(VALU_DEP_3)
	v_fmac_f32_e32 v73, v170, v30
	v_dual_mul_f32 v74, v94, v33 :: v_dual_add_f32 v53, v53, v72
	s_delay_alu instid0(VALU_DEP_3) | instskip(SKIP_1) | instid1(VALU_DEP_4)
	v_dual_add_f32 v54, v65, v69 :: v_dual_fmamk_f32 v57, v58, 0x3f5db3d7, v55
	v_dual_fmac_f32 v55, 0xbf5db3d7, v58 :: v_dual_fmamk_f32 v58, v59, 0xbf5db3d7, v56
	v_sub_f32_e32 v81, v69, v73
	s_delay_alu instid0(VALU_DEP_3) | instskip(SKIP_3) | instid1(VALU_DEP_1)
	v_add_f32_e32 v54, v54, v73
	v_fmac_f32_e32 v56, 0x3f5db3d7, v59
	ds_store_2addr_b64 v230, v[55:56], v[53:54] offset0:4 offset1:56
	v_mul_f32_e32 v53, v95, v33
	v_fma_f32 v59, v94, v32, -v53
	v_mul_f32_e32 v53, v172, v35
	s_delay_alu instid0(VALU_DEP_2) | instskip(NEXT) | instid1(VALU_DEP_2)
	v_add_f32_e32 v55, v66, v59
	v_fma_f32 v79, v171, v34, -v53
	v_add_f32_e32 v53, v68, v72
	v_fmac_f32_e32 v74, v95, v32
	v_add_f32_e32 v54, v69, v73
	s_delay_alu instid0(VALU_DEP_4) | instskip(NEXT) | instid1(VALU_DEP_4)
	v_dual_sub_f32 v68, v68, v72 :: v_dual_add_f32 v55, v55, v79
	v_fma_f32 v53, -0.5, v53, v64
	s_delay_alu instid0(VALU_DEP_4) | instskip(NEXT) | instid1(VALU_DEP_4)
	v_add_f32_e32 v56, v67, v74
	v_fma_f32 v54, -0.5, v54, v65
	v_mul_f32_e32 v80, v171, v35
	s_delay_alu instid0(VALU_DEP_4) | instskip(SKIP_1) | instid1(VALU_DEP_4)
	v_fmamk_f32 v64, v81, 0x3f5db3d7, v53
	v_fmac_f32_e32 v53, 0xbf5db3d7, v81
	v_fmamk_f32 v65, v68, 0xbf5db3d7, v54
	s_delay_alu instid0(VALU_DEP_4) | instskip(NEXT) | instid1(VALU_DEP_1)
	v_fmac_f32_e32 v80, v172, v34
	v_add_f32_e32 v56, v56, v80
	ds_store_2addr_b64 v230, v[55:56], v[64:65] offset0:108 offset1:160
	v_sub_f32_e32 v64, v74, v80
	v_dual_add_f32 v55, v74, v80 :: v_dual_add_f32 v56, v59, v79
	v_sub_f32_e32 v59, v59, v79
	s_delay_alu instid0(VALU_DEP_2) | instskip(NEXT) | instid1(VALU_DEP_3)
	v_fmac_f32_e32 v67, -0.5, v55
	v_fma_f32 v66, -0.5, v56, v66
	v_fmac_f32_e32 v54, 0x3f5db3d7, v68
	s_delay_alu instid0(VALU_DEP_3) | instskip(NEXT) | instid1(VALU_DEP_3)
	v_fmamk_f32 v56, v59, 0xbf5db3d7, v67
	v_fmamk_f32 v55, v64, 0x3f5db3d7, v66
	v_fmac_f32_e32 v67, 0x3f5db3d7, v59
	ds_store_2addr_b64 v231, v[55:56], v[53:54] offset0:84 offset1:136
	v_dual_mul_f32 v53, v178, v49 :: v_dual_mul_f32 v54, v181, v51
	s_delay_alu instid0(VALU_DEP_1) | instskip(NEXT) | instid1(VALU_DEP_2)
	v_fma_f32 v55, v177, v48, -v53
	v_dual_mul_f32 v53, v177, v49 :: v_dual_fmac_f32 v54, v182, v50
	s_delay_alu instid0(VALU_DEP_1)
	v_fmac_f32_e32 v53, v178, v48
	v_fmac_f32_e32 v66, 0xbf5db3d7, v64
	v_mul_f32_e32 v56, v182, v51
	ds_store_b64 v209, v[66:67] offset:4576
	ds_store_b64 v209, v[57:58] offset:1248
	v_sub_f32_e32 v59, v53, v54
	v_fma_f32 v56, v181, v50, -v56
	v_dual_add_f32 v57, v174, v53 :: v_dual_add_f32 v58, v53, v54
	s_delay_alu instid0(VALU_DEP_2) | instskip(NEXT) | instid1(VALU_DEP_2)
	v_dual_add_f32 v53, v173, v55 :: v_dual_sub_f32 v66, v55, v56
	v_dual_add_f32 v54, v57, v54 :: v_dual_add_f32 v57, v55, v56
	s_delay_alu instid0(VALU_DEP_1) | instskip(SKIP_1) | instid1(VALU_DEP_1)
	v_fma_f32 v55, -0.5, v57, v173
	v_and_b32_e32 v57, 0xffff, v75
	v_lshlrev_b32_e32 v223, 3, v57
	v_add_f32_e32 v53, v53, v56
	v_fma_f32 v56, -0.5, v58, v174
	v_fmamk_f32 v57, v59, 0x3f5db3d7, v55
	v_fmac_f32_e32 v55, 0xbf5db3d7, v59
	v_add_nc_u32_e32 v64, 0x1000, v223
	s_delay_alu instid0(VALU_DEP_4) | instskip(SKIP_4) | instid1(VALU_DEP_2)
	v_fmamk_f32 v58, v66, 0xbf5db3d7, v56
	v_fmac_f32_e32 v56, 0x3f5db3d7, v66
	ds_store_2addr_b64 v64, v[53:54], v[57:58] offset0:112 offset1:216
	v_dual_mul_f32 v53, v180, v45 :: v_dual_mul_f32 v54, v183, v47
	v_mul_f32_e32 v58, v184, v47
	v_fma_f32 v57, v179, v44, -v53
	s_delay_alu instid0(VALU_DEP_3) | instskip(NEXT) | instid1(VALU_DEP_3)
	v_dual_mul_f32 v53, v179, v45 :: v_dual_fmac_f32 v54, v184, v46
	v_fma_f32 v58, v183, v46, -v58
	s_delay_alu instid0(VALU_DEP_2) | instskip(NEXT) | instid1(VALU_DEP_1)
	v_fmac_f32_e32 v53, v180, v44
	v_dual_add_f32 v64, v176, v53 :: v_dual_sub_f32 v67, v53, v54
	v_add_f32_e32 v65, v53, v54
	s_delay_alu instid0(VALU_DEP_4) | instskip(NEXT) | instid1(VALU_DEP_3)
	v_dual_add_f32 v53, v175, v57 :: v_dual_sub_f32 v68, v57, v58
	v_add_f32_e32 v54, v64, v54
	v_dual_add_f32 v64, v57, v58 :: v_dual_and_b32 v57, 0xffff, v76
	s_delay_alu instid0(VALU_DEP_1) | instskip(NEXT) | instid1(VALU_DEP_2)
	v_fma_f32 v175, -0.5, v64, v175
	v_dual_add_f32 v53, v53, v58 :: v_dual_lshlrev_b32 v224, 3, v57
	s_delay_alu instid0(VALU_DEP_2) | instskip(NEXT) | instid1(VALU_DEP_2)
	v_dual_fmac_f32 v176, -0.5, v65 :: v_dual_fmamk_f32 v57, v67, 0x3f5db3d7, v175
	v_add_nc_u32_e32 v64, 0x1000, v224
	s_delay_alu instid0(VALU_DEP_2) | instskip(SKIP_3) | instid1(VALU_DEP_1)
	v_dual_fmac_f32 v175, 0xbf5db3d7, v67 :: v_dual_fmamk_f32 v58, v68, 0xbf5db3d7, v176
	v_fmac_f32_e32 v176, 0x3f5db3d7, v68
	ds_store_2addr_b64 v64, v[53:54], v[57:58] offset0:112 offset1:216
	v_dual_mul_f32 v53, v190, v41 :: v_dual_mul_f32 v54, v193, v43
	v_fma_f32 v57, v189, v40, -v53
	s_delay_alu instid0(VALU_DEP_2) | instskip(NEXT) | instid1(VALU_DEP_1)
	v_dual_mul_f32 v53, v189, v41 :: v_dual_fmac_f32 v54, v194, v42
	v_fmac_f32_e32 v53, v190, v40
	s_delay_alu instid0(VALU_DEP_1) | instskip(NEXT) | instid1(VALU_DEP_1)
	v_dual_mul_f32 v58, v194, v43 :: v_dual_sub_f32 v69, v53, v54
	v_fma_f32 v58, v193, v42, -v58
	v_dual_add_f32 v64, v186, v53 :: v_dual_add_f32 v65, v53, v54
	v_add_f32_e32 v53, v185, v57
	s_delay_alu instid0(VALU_DEP_3) | instskip(NEXT) | instid1(VALU_DEP_3)
	v_sub_f32_e32 v72, v57, v58
	v_add_f32_e32 v54, v64, v54
	v_add_f32_e32 v64, v57, v58
	s_delay_alu instid0(VALU_DEP_4) | instskip(SKIP_1) | instid1(VALU_DEP_1)
	v_add_f32_e32 v53, v53, v58
	v_fma_f32 v58, -0.5, v65, v186
	v_fmamk_f32 v65, v72, 0xbf5db3d7, v58
	s_delay_alu instid0(VALU_DEP_4) | instskip(SKIP_1) | instid1(VALU_DEP_1)
	v_fma_f32 v57, -0.5, v64, v185
	v_and_b32_e32 v64, 0xffff, v77
	v_dual_fmamk_f32 v64, v69, 0x3f5db3d7, v57 :: v_dual_lshlrev_b32 v225, 3, v64
	v_fmac_f32_e32 v57, 0xbf5db3d7, v69
	s_delay_alu instid0(VALU_DEP_2) | instskip(SKIP_3) | instid1(VALU_DEP_1)
	v_add_nc_u32_e32 v73, 0x1c00, v225
	v_fmac_f32_e32 v58, 0x3f5db3d7, v72
	ds_store_2addr_b64 v73, v[53:54], v[64:65] offset0:40 offset1:144
	v_dual_mul_f32 v53, v192, v37 :: v_dual_mul_f32 v54, v195, v39
	v_fma_f32 v64, v191, v36, -v53
	s_delay_alu instid0(VALU_DEP_2) | instskip(NEXT) | instid1(VALU_DEP_1)
	v_dual_mul_f32 v53, v191, v37 :: v_dual_fmac_f32 v54, v196, v38
	v_fmac_f32_e32 v53, v192, v36
	s_delay_alu instid0(VALU_DEP_1) | instskip(NEXT) | instid1(VALU_DEP_1)
	v_dual_mul_f32 v65, v196, v39 :: v_dual_sub_f32 v74, v53, v54
	v_fma_f32 v65, v195, v38, -v65
	v_add_f32_e32 v73, v188, v53
	s_delay_alu instid0(VALU_DEP_2) | instskip(NEXT) | instid1(VALU_DEP_1)
	v_dual_add_f32 v75, v53, v54 :: v_dual_sub_f32 v76, v64, v65
	v_dual_add_f32 v53, v187, v64 :: v_dual_fmac_f32 v188, -0.5, v75
	s_delay_alu instid0(VALU_DEP_3) | instskip(NEXT) | instid1(VALU_DEP_2)
	v_dual_add_f32 v54, v73, v54 :: v_dual_add_f32 v73, v64, v65
	v_dual_add_f32 v53, v53, v65 :: v_dual_and_b32 v64, 0xffff, v78
	s_delay_alu instid0(VALU_DEP_3) | instskip(SKIP_1) | instid1(VALU_DEP_3)
	v_fmamk_f32 v65, v76, 0xbf5db3d7, v188
	v_fmac_f32_e32 v188, 0x3f5db3d7, v76
	v_lshlrev_b32_e32 v226, 3, v64
	v_fma_f32 v187, -0.5, v73, v187
	s_delay_alu instid0(VALU_DEP_2) | instskip(NEXT) | instid1(VALU_DEP_2)
	v_add_nc_u32_e32 v73, 0x1c00, v226
	v_fmamk_f32 v64, v74, 0x3f5db3d7, v187
	v_fmac_f32_e32 v187, 0xbf5db3d7, v74
	ds_store_2addr_b64 v73, v[53:54], v[64:65] offset0:40 offset1:144
	ds_store_b64 v223, v[55:56] offset:6656
	ds_store_b64 v225, v[57:58] offset:9152
	;; [unrolled: 1-line block ×4, first 2 shown]
	global_wb scope:SCOPE_SE
	s_wait_dscnt 0x0
	s_barrier_signal -1
	s_barrier_wait -1
	global_inv scope:SCOPE_SE
	s_clause 0x3
	global_load_b64 v[169:170], v52, s[10:11] offset:2480
	global_load_b64 v[173:174], v52, s[10:11] offset:2896
	;; [unrolled: 1-line block ×4, first 2 shown]
	ds_load_2addr_b64 v[53:56], v227 offset0:112 offset1:164
	s_wait_loadcnt_dscnt 0x300
	v_mul_f32_e32 v57, v54, v170
	v_mul_f32_e32 v58, v53, v170
	s_wait_loadcnt 0x2
	v_mul_f32_e32 v65, v55, v174
	s_delay_alu instid0(VALU_DEP_3) | instskip(NEXT) | instid1(VALU_DEP_3)
	v_fma_f32 v57, v53, v169, -v57
	v_dual_mul_f32 v53, v56, v174 :: v_dual_fmac_f32 v58, v54, v169
	s_delay_alu instid0(VALU_DEP_3) | instskip(NEXT) | instid1(VALU_DEP_2)
	v_fmac_f32_e32 v65, v56, v173
	v_fma_f32 v59, v55, v173, -v53
	ds_load_2addr_b64 v[53:56], v25 offset0:88 offset1:140
	s_clause 0x1
	global_load_b64 v[181:182], v52, s[10:11] offset:4144
	global_load_b64 v[179:180], v52, s[10:11] offset:4560
	s_wait_loadcnt_dscnt 0x300
	v_mul_f32_e32 v64, v54, v176
	v_mul_f32_e32 v73, v53, v176
	s_wait_loadcnt 0x2
	v_mul_f32_e32 v75, v55, v172
	s_delay_alu instid0(VALU_DEP_3) | instskip(SKIP_2) | instid1(VALU_DEP_4)
	v_fma_f32 v72, v53, v175, -v64
	v_mul_f32_e32 v53, v56, v172
	v_fmac_f32_e32 v73, v54, v175
	v_fmac_f32_e32 v75, v56, v171
	s_delay_alu instid0(VALU_DEP_3)
	v_fma_f32 v74, v55, v171, -v53
	ds_load_2addr_b64 v[53:56], v228 offset0:64 offset1:116
	s_wait_loadcnt_dscnt 0x100
	v_mul_f32_e32 v64, v54, v182
	v_mul_f32_e32 v81, v53, v182
	s_wait_loadcnt 0x0
	v_mul_f32_e32 v83, v55, v180
	s_delay_alu instid0(VALU_DEP_3) | instskip(SKIP_2) | instid1(VALU_DEP_4)
	v_fma_f32 v80, v53, v181, -v64
	v_mul_f32_e32 v53, v56, v180
	v_fmac_f32_e32 v81, v54, v181
	v_fmac_f32_e32 v83, v56, v179
	s_delay_alu instid0(VALU_DEP_3)
	v_fma_f32 v82, v55, v179, -v53
	ds_load_2addr_b64 v[53:56], v228 offset0:168 offset1:220
	s_wait_dscnt 0x0
	v_mul_f32_e32 v64, v54, v170
	v_mul_f32_e32 v178, v53, v170
	v_mul_f32_e32 v184, v55, v174
	s_delay_alu instid0(VALU_DEP_3) | instskip(NEXT) | instid1(VALU_DEP_3)
	v_fma_f32 v177, v53, v169, -v64
	v_dual_mul_f32 v53, v56, v174 :: v_dual_fmac_f32 v178, v54, v169
	s_delay_alu instid0(VALU_DEP_3) | instskip(NEXT) | instid1(VALU_DEP_2)
	v_fmac_f32_e32 v184, v56, v173
	v_fma_f32 v183, v55, v173, -v53
	ds_load_2addr_b64 v[53:56], v24 offset0:16 offset1:68
	s_wait_dscnt 0x0
	v_mul_f32_e32 v64, v54, v176
	v_mul_f32_e32 v190, v53, v176
	v_mul_f32_e32 v192, v55, v172
	s_delay_alu instid0(VALU_DEP_3) | instskip(NEXT) | instid1(VALU_DEP_3)
	v_fma_f32 v189, v53, v175, -v64
	v_dual_mul_f32 v53, v56, v172 :: v_dual_fmac_f32 v190, v54, v175
	s_delay_alu instid0(VALU_DEP_3) | instskip(NEXT) | instid1(VALU_DEP_2)
	v_fmac_f32_e32 v192, v56, v171
	;; [unrolled: 11-line block ×3, first 2 shown]
	v_fma_f32 v199, v55, v179, -v53
	ds_load_2addr_b64 v[53:56], v209 offset1:52
	s_wait_dscnt 0x0
	v_dual_sub_f32 v57, v53, v57 :: v_dual_sub_f32 v58, v54, v58
	v_dual_sub_f32 v64, v55, v59 :: v_dual_sub_f32 v65, v56, v65
	s_delay_alu instid0(VALU_DEP_2) | instskip(NEXT) | instid1(VALU_DEP_3)
	v_fma_f32 v66, v53, 2.0, -v57
	v_fma_f32 v67, v54, 2.0, -v58
	s_delay_alu instid0(VALU_DEP_3) | instskip(NEXT) | instid1(VALU_DEP_4)
	v_fma_f32 v68, v55, 2.0, -v64
	v_fma_f32 v69, v56, 2.0, -v65
	ds_load_2addr_b64 v[53:56], v209 offset0:104 offset1:156
	s_wait_dscnt 0x0
	v_dual_sub_f32 v72, v53, v72 :: v_dual_sub_f32 v75, v56, v75
	v_dual_sub_f32 v73, v54, v73 :: v_dual_sub_f32 v74, v55, v74
	s_delay_alu instid0(VALU_DEP_2) | instskip(NEXT) | instid1(VALU_DEP_3)
	v_fma_f32 v76, v53, 2.0, -v72
	v_fma_f32 v79, v56, 2.0, -v75
	s_delay_alu instid0(VALU_DEP_3) | instskip(NEXT) | instid1(VALU_DEP_4)
	v_fma_f32 v77, v54, 2.0, -v73
	v_fma_f32 v78, v55, 2.0, -v74
	ds_load_2addr_b64 v[53:56], v229 offset0:80 offset1:132
	;; [unrolled: 10-line block ×5, first 2 shown]
	global_wb scope:SCOPE_SE
	s_wait_dscnt 0x0
	s_barrier_signal -1
	s_barrier_wait -1
	global_inv scope:SCOPE_SE
	ds_store_b64 v209, v[57:58] offset:2496
	ds_store_2addr_b64 v209, v[66:67], v[68:69] offset1:52
	ds_store_2addr_b64 v230, v[64:65], v[72:73] offset0:108 offset1:160
	ds_store_2addr_b64 v209, v[76:77], v[78:79] offset0:104 offset1:156
	;; [unrolled: 1-line block ×6, first 2 shown]
	v_dual_sub_f32 v197, v53, v197 :: v_dual_sub_f32 v198, v54, v198
	v_dual_sub_f32 v199, v55, v199 :: v_dual_sub_f32 v200, v56, v200
	s_delay_alu instid0(VALU_DEP_2) | instskip(NEXT) | instid1(VALU_DEP_3)
	v_fma_f32 v53, v53, 2.0, -v197
	v_fma_f32 v54, v54, 2.0, -v198
	s_delay_alu instid0(VALU_DEP_3) | instskip(NEXT) | instid1(VALU_DEP_4)
	v_fma_f32 v55, v55, 2.0, -v199
	v_fma_f32 v56, v56, 2.0, -v200
	ds_store_2addr_b64 v232, v[183:184], v[189:190] offset0:92 offset1:144
	ds_store_2addr_b64 v228, v[195:196], v[53:54] offset0:12 offset1:64
	;; [unrolled: 1-line block ×4, first 2 shown]
	ds_store_b64 v209, v[199:200] offset:9568
	global_wb scope:SCOPE_SE
	s_wait_dscnt 0x0
	s_barrier_signal -1
	s_barrier_wait -1
	global_inv scope:SCOPE_SE
	s_clause 0x3
	global_load_b64 v[177:178], v52, s[10:11] offset:4976
	global_load_b64 v[183:184], v52, s[10:11] offset:5392
	global_load_b64 v[185:186], v52, s[10:11] offset:5808
	global_load_b64 v[187:188], v52, s[10:11] offset:6224
	ds_load_2addr_b64 v[53:56], v227 offset0:112 offset1:164
	s_wait_loadcnt_dscnt 0x300
	v_mul_f32_e32 v57, v54, v178
	s_wait_loadcnt 0x2
	v_dual_mul_f32 v58, v53, v178 :: v_dual_mul_f32 v65, v55, v184
	s_delay_alu instid0(VALU_DEP_2) | instskip(NEXT) | instid1(VALU_DEP_2)
	v_fma_f32 v57, v53, v177, -v57
	v_dual_mul_f32 v53, v56, v184 :: v_dual_fmac_f32 v58, v54, v177
	s_delay_alu instid0(VALU_DEP_3) | instskip(NEXT) | instid1(VALU_DEP_2)
	v_fmac_f32_e32 v65, v56, v183
	v_fma_f32 v59, v55, v183, -v53
	ds_load_2addr_b64 v[53:56], v25 offset0:88 offset1:140
	s_clause 0x3
	global_load_b64 v[193:194], v52, s[10:11] offset:6640
	global_load_b64 v[195:196], v52, s[10:11] offset:7056
	global_load_b64 v[189:190], v52, s[10:11] offset:7472
	global_load_b64 v[191:192], v52, s[10:11] offset:7888
	s_wait_loadcnt_dscnt 0x500
	v_mul_f32_e32 v64, v54, v186
	v_mul_f32_e32 v73, v53, v186
	s_wait_loadcnt 0x4
	v_mul_f32_e32 v75, v55, v188
	s_delay_alu instid0(VALU_DEP_3) | instskip(SKIP_2) | instid1(VALU_DEP_4)
	v_fma_f32 v72, v53, v185, -v64
	v_mul_f32_e32 v53, v56, v188
	v_fmac_f32_e32 v73, v54, v185
	v_fmac_f32_e32 v75, v56, v187
	s_delay_alu instid0(VALU_DEP_3)
	v_fma_f32 v74, v55, v187, -v53
	ds_load_2addr_b64 v[53:56], v228 offset0:64 offset1:116
	s_wait_loadcnt_dscnt 0x300
	v_mul_f32_e32 v64, v54, v194
	v_mul_f32_e32 v81, v53, v194
	s_wait_loadcnt 0x2
	v_mul_f32_e32 v83, v55, v196
	s_delay_alu instid0(VALU_DEP_3) | instskip(SKIP_2) | instid1(VALU_DEP_4)
	v_fma_f32 v80, v53, v193, -v64
	v_mul_f32_e32 v53, v56, v196
	v_fmac_f32_e32 v81, v54, v193
	v_fmac_f32_e32 v83, v56, v195
	s_delay_alu instid0(VALU_DEP_3)
	v_fma_f32 v82, v55, v195, -v53
	ds_load_2addr_b64 v[53:56], v228 offset0:168 offset1:220
	s_clause 0x3
	global_load_b64 v[203:204], v52, s[10:11] offset:8304
	global_load_b64 v[199:200], v52, s[10:11] offset:8720
	global_load_b64 v[201:202], v52, s[10:11] offset:9136
	global_load_b64 v[197:198], v52, s[10:11] offset:9552
	s_wait_loadcnt_dscnt 0x500
	v_mul_f32_e32 v64, v54, v190
	v_mul_f32_e32 v206, v53, v190
	s_wait_loadcnt 0x4
	v_mul_f32_e32 v234, v55, v192
	s_delay_alu instid0(VALU_DEP_3) | instskip(NEXT) | instid1(VALU_DEP_3)
	v_fma_f32 v205, v53, v189, -v64
	v_dual_mul_f32 v53, v56, v192 :: v_dual_fmac_f32 v206, v54, v189
	s_delay_alu instid0(VALU_DEP_3) | instskip(NEXT) | instid1(VALU_DEP_2)
	v_fmac_f32_e32 v234, v56, v191
	v_fma_f32 v233, v55, v191, -v53
	ds_load_2addr_b64 v[53:56], v24 offset0:16 offset1:68
	s_wait_loadcnt_dscnt 0x300
	v_mul_f32_e32 v64, v54, v204
	v_mul_f32_e32 v240, v53, v204
	s_wait_loadcnt 0x2
	v_mul_f32_e32 v242, v55, v200
	s_delay_alu instid0(VALU_DEP_3) | instskip(NEXT) | instid1(VALU_DEP_3)
	v_fma_f32 v239, v53, v203, -v64
	v_dual_mul_f32 v53, v56, v200 :: v_dual_fmac_f32 v240, v54, v203
	s_delay_alu instid0(VALU_DEP_3) | instskip(NEXT) | instid1(VALU_DEP_2)
	v_fmac_f32_e32 v242, v56, v199
	v_fma_f32 v241, v55, v199, -v53
	ds_load_2addr_b64 v[53:56], v24 offset0:120 offset1:172
	s_wait_loadcnt_dscnt 0x100
	v_mul_f32_e32 v64, v54, v202
	v_mul_f32_e32 v248, v53, v202
	s_wait_loadcnt 0x0
	v_mul_f32_e32 v250, v55, v198
	s_delay_alu instid0(VALU_DEP_3) | instskip(NEXT) | instid1(VALU_DEP_3)
	v_fma_f32 v247, v53, v201, -v64
	v_dual_mul_f32 v53, v56, v198 :: v_dual_fmac_f32 v248, v54, v201
	s_delay_alu instid0(VALU_DEP_3) | instskip(NEXT) | instid1(VALU_DEP_2)
	v_fmac_f32_e32 v250, v56, v197
	v_fma_f32 v249, v55, v197, -v53
	ds_load_2addr_b64 v[53:56], v209 offset1:52
	s_wait_dscnt 0x0
	v_dual_sub_f32 v57, v53, v57 :: v_dual_sub_f32 v58, v54, v58
	v_dual_sub_f32 v64, v55, v59 :: v_dual_sub_f32 v65, v56, v65
	s_delay_alu instid0(VALU_DEP_2) | instskip(NEXT) | instid1(VALU_DEP_3)
	v_fma_f32 v66, v53, 2.0, -v57
	v_fma_f32 v67, v54, 2.0, -v58
	s_delay_alu instid0(VALU_DEP_3) | instskip(NEXT) | instid1(VALU_DEP_4)
	v_fma_f32 v68, v55, 2.0, -v64
	v_fma_f32 v69, v56, 2.0, -v65
	ds_load_2addr_b64 v[53:56], v209 offset0:104 offset1:156
	s_wait_dscnt 0x0
	v_dual_sub_f32 v72, v53, v72 :: v_dual_sub_f32 v73, v54, v73
	v_dual_sub_f32 v74, v55, v74 :: v_dual_sub_f32 v75, v56, v75
	s_delay_alu instid0(VALU_DEP_2) | instskip(NEXT) | instid1(VALU_DEP_3)
	v_fma_f32 v76, v53, 2.0, -v72
	v_fma_f32 v77, v54, 2.0, -v73
	s_delay_alu instid0(VALU_DEP_3) | instskip(NEXT) | instid1(VALU_DEP_4)
	v_fma_f32 v78, v55, 2.0, -v74
	v_fma_f32 v79, v56, 2.0, -v75
	ds_load_2addr_b64 v[53:56], v229 offset0:80 offset1:132
	;; [unrolled: 10-line block ×5, first 2 shown]
	s_wait_dscnt 0x0
	v_dual_sub_f32 v247, v53, v247 :: v_dual_sub_f32 v248, v54, v248
	v_dual_sub_f32 v249, v55, v249 :: v_dual_sub_f32 v250, v56, v250
	s_delay_alu instid0(VALU_DEP_2) | instskip(NEXT) | instid1(VALU_DEP_3)
	v_fma_f32 v53, v53, 2.0, -v247
	v_fma_f32 v54, v54, 2.0, -v248
	s_delay_alu instid0(VALU_DEP_3) | instskip(NEXT) | instid1(VALU_DEP_4)
	v_fma_f32 v55, v55, 2.0, -v249
	v_fma_f32 v56, v56, 2.0, -v250
	ds_store_b64 v209, v[57:58] offset:4992
	ds_store_2addr_b64 v209, v[66:67], v[68:69] offset1:52
	ds_store_2addr_b64 v227, v[64:65], v[72:73] offset0:164 offset1:216
	ds_store_2addr_b64 v209, v[76:77], v[78:79] offset0:104 offset1:156
	;; [unrolled: 1-line block ×10, first 2 shown]
	ds_store_b64 v209, v[249:250] offset:9568
	global_wb scope:SCOPE_SE
	s_wait_dscnt 0x0
	s_barrier_signal -1
	s_barrier_wait -1
	global_inv scope:SCOPE_SE
	s_clause 0x3
	global_load_b64 v[57:58], v[62:63], off offset:9984
	global_load_b64 v[62:63], v52, s[2:3] offset:416
	global_load_b64 v[64:65], v52, s[2:3] offset:832
	global_load_b64 v[66:67], v52, s[2:3] offset:1248
	ds_load_2addr_b64 v[53:56], v209 offset1:52
	s_wait_loadcnt_dscnt 0x300
	v_mul_f32_e32 v59, v54, v58
	s_wait_loadcnt 0x2
	v_dual_mul_f32 v69, v53, v58 :: v_dual_mul_f32 v58, v55, v63
	s_delay_alu instid0(VALU_DEP_2) | instskip(NEXT) | instid1(VALU_DEP_2)
	v_fma_f32 v68, v53, v57, -v59
	v_fmac_f32_e32 v69, v54, v57
	v_mul_f32_e32 v53, v56, v63
	s_delay_alu instid0(VALU_DEP_4)
	v_fmac_f32_e32 v58, v56, v62
	ds_store_b64 v209, v[68:69]
	v_fma_f32 v57, v55, v62, -v53
	s_clause 0x3
	global_load_b64 v[62:63], v52, s[2:3] offset:4992
	global_load_b64 v[68:69], v52, s[2:3] offset:5408
	;; [unrolled: 1-line block ×4, first 2 shown]
	ds_load_2addr_b64 v[53:56], v227 offset0:112 offset1:164
	s_wait_loadcnt_dscnt 0x300
	v_mul_f32_e32 v77, v53, v63
	v_mul_f32_e32 v59, v54, v63
	s_wait_loadcnt 0x2
	v_mul_f32_e32 v63, v55, v69
	s_delay_alu instid0(VALU_DEP_3) | instskip(NEXT) | instid1(VALU_DEP_3)
	v_fmac_f32_e32 v77, v54, v62
	v_fma_f32 v76, v53, v62, -v59
	v_mul_f32_e32 v53, v56, v69
	s_delay_alu instid0(VALU_DEP_4) | instskip(NEXT) | instid1(VALU_DEP_2)
	v_fmac_f32_e32 v63, v56, v68
	v_fma_f32 v62, v55, v68, -v53
	ds_load_2addr_b64 v[53:56], v209 offset0:104 offset1:156
	s_wait_dscnt 0x0
	v_mul_f32_e32 v59, v54, v65
	v_mul_f32_e32 v69, v53, v65
	;; [unrolled: 1-line block ×3, first 2 shown]
	s_delay_alu instid0(VALU_DEP_3) | instskip(SKIP_1) | instid1(VALU_DEP_4)
	v_fma_f32 v68, v53, v64, -v59
	v_mul_f32_e32 v53, v56, v67
	v_fmac_f32_e32 v69, v54, v64
	s_delay_alu instid0(VALU_DEP_4) | instskip(NEXT) | instid1(VALU_DEP_3)
	v_fmac_f32_e32 v65, v56, v66
	v_fma_f32 v64, v55, v66, -v53
	ds_load_2addr_b64 v[53:56], v25 offset0:88 offset1:140
	s_wait_loadcnt_dscnt 0x100
	v_mul_f32_e32 v59, v54, v73
	v_mul_f32_e32 v67, v53, v73
	s_wait_loadcnt 0x0
	v_mul_f32_e32 v73, v55, v75
	s_delay_alu instid0(VALU_DEP_3) | instskip(SKIP_2) | instid1(VALU_DEP_4)
	v_fma_f32 v66, v53, v72, -v59
	v_mul_f32_e32 v53, v56, v75
	v_fmac_f32_e32 v67, v54, v72
	v_fmac_f32_e32 v73, v56, v74
	s_delay_alu instid0(VALU_DEP_3)
	v_fma_f32 v72, v55, v74, -v53
	s_clause 0x3
	global_load_b64 v[74:75], v52, s[2:3] offset:1664
	global_load_b64 v[78:79], v52, s[2:3] offset:2080
	;; [unrolled: 1-line block ×4, first 2 shown]
	ds_load_2addr_b64 v[53:56], v229 offset0:80 offset1:132
	s_wait_loadcnt_dscnt 0x300
	v_mul_f32_e32 v59, v54, v75
	v_mul_f32_e32 v93, v53, v75
	s_wait_loadcnt 0x2
	v_mul_f32_e32 v75, v55, v79
	s_delay_alu instid0(VALU_DEP_3) | instskip(SKIP_2) | instid1(VALU_DEP_4)
	v_fma_f32 v92, v53, v74, -v59
	v_mul_f32_e32 v53, v56, v79
	v_fmac_f32_e32 v93, v54, v74
	v_fmac_f32_e32 v75, v56, v78
	s_delay_alu instid0(VALU_DEP_3)
	v_fma_f32 v74, v55, v78, -v53
	s_clause 0x3
	global_load_b64 v[78:79], v52, s[2:3] offset:6656
	global_load_b64 v[94:95], v52, s[2:3] offset:7072
	;; [unrolled: 1-line block ×4, first 2 shown]
	ds_load_2addr_b64 v[53:56], v228 offset0:64 offset1:116
	s_wait_loadcnt_dscnt 0x300
	v_mul_f32_e32 v59, v54, v79
	v_mul_f32_e32 v236, v53, v79
	s_wait_loadcnt 0x2
	v_mul_f32_e32 v79, v55, v95
	s_delay_alu instid0(VALU_DEP_3) | instskip(NEXT) | instid1(VALU_DEP_3)
	v_fma_f32 v235, v53, v78, -v59
	v_dual_mul_f32 v53, v56, v95 :: v_dual_fmac_f32 v236, v54, v78
	s_delay_alu instid0(VALU_DEP_3) | instskip(NEXT) | instid1(VALU_DEP_2)
	v_fmac_f32_e32 v79, v56, v94
	v_fma_f32 v78, v55, v94, -v53
	ds_load_2addr_b64 v[53:56], v230 offset0:56 offset1:108
	s_wait_dscnt 0x0
	v_mul_f32_e32 v59, v54, v81
	v_mul_f32_e32 v95, v53, v81
	;; [unrolled: 1-line block ×3, first 2 shown]
	s_delay_alu instid0(VALU_DEP_3) | instskip(SKIP_1) | instid1(VALU_DEP_4)
	v_fma_f32 v94, v53, v80, -v59
	v_mul_f32_e32 v53, v56, v83
	v_fmac_f32_e32 v95, v54, v80
	s_delay_alu instid0(VALU_DEP_4) | instskip(NEXT) | instid1(VALU_DEP_3)
	v_fmac_f32_e32 v81, v56, v82
	v_fma_f32 v80, v55, v82, -v53
	ds_load_2addr_b64 v[53:56], v228 offset0:168 offset1:220
	s_wait_loadcnt_dscnt 0x100
	v_mul_f32_e32 v59, v54, v206
	v_mul_f32_e32 v83, v53, v206
	s_wait_loadcnt 0x0
	v_mul_f32_e32 v206, v55, v234
	s_delay_alu instid0(VALU_DEP_3) | instskip(SKIP_2) | instid1(VALU_DEP_4)
	v_fma_f32 v82, v53, v205, -v59
	v_mul_f32_e32 v53, v56, v234
	v_fmac_f32_e32 v83, v54, v205
	v_fmac_f32_e32 v206, v56, v233
	s_delay_alu instid0(VALU_DEP_3)
	v_fma_f32 v205, v55, v233, -v53
	s_clause 0x3
	global_load_b64 v[233:234], v52, s[2:3] offset:3328
	global_load_b64 v[237:238], v52, s[2:3] offset:3744
	;; [unrolled: 1-line block ×4, first 2 shown]
	ds_load_2addr_b64 v[53:56], v230 offset0:160 offset1:212
	s_wait_loadcnt_dscnt 0x300
	v_mul_f32_e32 v59, v54, v234
	v_mul_f32_e32 v244, v53, v234
	s_wait_loadcnt 0x2
	v_mul_f32_e32 v234, v55, v238
	s_delay_alu instid0(VALU_DEP_3) | instskip(NEXT) | instid1(VALU_DEP_3)
	v_fma_f32 v243, v53, v233, -v59
	v_dual_mul_f32 v53, v56, v238 :: v_dual_fmac_f32 v244, v54, v233
	s_delay_alu instid0(VALU_DEP_3) | instskip(NEXT) | instid1(VALU_DEP_2)
	v_fmac_f32_e32 v234, v56, v237
	v_fma_f32 v233, v55, v237, -v53
	s_clause 0x3
	global_load_b64 v[237:238], v52, s[2:3] offset:8320
	global_load_b64 v[245:246], v52, s[2:3] offset:8736
	;; [unrolled: 1-line block ×4, first 2 shown]
	ds_load_2addr_b64 v[52:55], v24 offset0:16 offset1:68
	s_wait_loadcnt_dscnt 0x300
	v_mul_f32_e32 v56, v53, v238
	v_mul_f32_e32 v252, v52, v238
	s_wait_loadcnt 0x2
	v_mul_f32_e32 v238, v54, v246
	s_delay_alu instid0(VALU_DEP_3) | instskip(SKIP_2) | instid1(VALU_DEP_4)
	v_fma_f32 v251, v52, v237, -v56
	v_mul_f32_e32 v52, v55, v246
	v_fmac_f32_e32 v252, v53, v237
	v_fmac_f32_e32 v238, v55, v245
	s_delay_alu instid0(VALU_DEP_3)
	v_fma_f32 v237, v54, v245, -v52
	ds_load_2addr_b64 v[52:55], v227 offset0:8 offset1:60
	s_wait_dscnt 0x0
	v_mul_f32_e32 v56, v53, v240
	v_mul_f32_e32 v246, v52, v240
	;; [unrolled: 1-line block ×3, first 2 shown]
	s_delay_alu instid0(VALU_DEP_3) | instskip(SKIP_1) | instid1(VALU_DEP_4)
	v_fma_f32 v245, v52, v239, -v56
	v_mul_f32_e32 v52, v55, v242
	v_fmac_f32_e32 v246, v53, v239
	s_delay_alu instid0(VALU_DEP_4) | instskip(NEXT) | instid1(VALU_DEP_3)
	v_fmac_f32_e32 v240, v55, v241
	v_fma_f32 v239, v54, v241, -v52
	ds_load_2addr_b64 v[52:55], v24 offset0:120 offset1:172
	s_wait_loadcnt_dscnt 0x100
	v_mul_f32_e32 v56, v53, v248
	v_mul_f32_e32 v242, v52, v248
	s_delay_alu instid0(VALU_DEP_2) | instskip(NEXT) | instid1(VALU_DEP_2)
	v_fma_f32 v241, v52, v247, -v56
	v_fmac_f32_e32 v242, v53, v247
	s_wait_loadcnt 0x0
	v_mul_f32_e32 v52, v55, v250
	v_mul_f32_e32 v53, v54, v250
	s_delay_alu instid0(VALU_DEP_2) | instskip(NEXT) | instid1(VALU_DEP_2)
	v_fma_f32 v52, v54, v249, -v52
	v_fmac_f32_e32 v53, v55, v249
	ds_store_2addr_b64 v209, v[57:58], v[68:69] offset0:52 offset1:104
	ds_store_2addr_b64 v227, v[62:63], v[66:67] offset0:164 offset1:216
	;; [unrolled: 1-line block ×11, first 2 shown]
	ds_store_b64 v209, v[52:53] offset:9568
	global_wb scope:SCOPE_SE
	s_wait_dscnt 0x0
	s_barrier_signal -1
	s_barrier_wait -1
	global_inv scope:SCOPE_SE
	ds_load_2addr_b64 v[52:55], v209 offset1:52
	ds_load_2addr_b64 v[56:59], v227 offset0:112 offset1:164
	ds_load_2addr_b64 v[92:95], v209 offset0:104 offset1:156
	ds_load_2addr_b64 v[233:236], v25 offset0:88 offset1:140
	ds_load_2addr_b64 v[237:240], v229 offset0:80 offset1:132
	ds_load_2addr_b64 v[241:244], v228 offset0:64 offset1:116
	ds_load_2addr_b64 v[245:248], v230 offset0:56 offset1:108
	ds_load_2addr_b64 v[249:252], v228 offset0:168 offset1:220
	ds_load_2addr_b64 v[66:69], v230 offset0:160 offset1:212
	ds_load_2addr_b64 v[72:75], v24 offset0:16 offset1:68
	ds_load_2addr_b64 v[76:79], v227 offset0:8 offset1:60
	ds_load_2addr_b64 v[80:83], v24 offset0:120 offset1:172
	global_wb scope:SCOPE_SE
	s_wait_dscnt 0x0
	s_barrier_signal -1
	s_barrier_wait -1
	global_inv scope:SCOPE_SE
	v_dual_sub_f32 v64, v52, v56 :: v_dual_sub_f32 v65, v53, v57
	v_dual_sub_f32 v56, v54, v58 :: v_dual_sub_f32 v57, v55, v59
	s_delay_alu instid0(VALU_DEP_2) | instskip(NEXT) | instid1(VALU_DEP_3)
	v_fma_f32 v62, v52, 2.0, -v64
	v_fma_f32 v63, v53, 2.0, -v65
	v_lshlrev_b32_e32 v52, 4, v208
	s_delay_alu instid0(VALU_DEP_4)
	v_fma_f32 v54, v54, 2.0, -v56
	v_fma_f32 v55, v55, 2.0, -v57
	ds_store_b128 v52, v[62:65]
	ds_store_b128 v84, v[54:57]
	scratch_load_b32 v56, off, off offset:36 th:TH_LOAD_LU ; 4-byte Folded Reload
	v_dual_sub_f32 v54, v92, v233 :: v_dual_sub_f32 v55, v93, v234
	s_delay_alu instid0(VALU_DEP_1) | instskip(NEXT) | instid1(VALU_DEP_2)
	v_fma_f32 v52, v92, 2.0, -v54
	v_fma_f32 v53, v93, 2.0, -v55
	ds_store_b128 v207, v[52:55]
	v_dual_sub_f32 v54, v94, v235 :: v_dual_sub_f32 v55, v95, v236
	s_delay_alu instid0(VALU_DEP_1) | instskip(NEXT) | instid1(VALU_DEP_2)
	v_fma_f32 v52, v94, 2.0, -v54
	v_fma_f32 v53, v95, 2.0, -v55
	ds_store_b128 v70, v[52:55]
	;; [unrolled: 5-line block ×4, first 2 shown]
	v_dual_sub_f32 v54, v245, v249 :: v_dual_sub_f32 v55, v246, v250
	s_delay_alu instid0(VALU_DEP_1) | instskip(NEXT) | instid1(VALU_DEP_2)
	v_fma_f32 v52, v245, 2.0, -v54
	v_fma_f32 v53, v246, 2.0, -v55
	s_wait_loadcnt 0x0
	ds_store_b128 v56, v[52:55]
	scratch_load_b32 v56, off, off offset:24 th:TH_LOAD_LU ; 4-byte Folded Reload
	v_dual_sub_f32 v54, v247, v251 :: v_dual_sub_f32 v55, v248, v252
	s_delay_alu instid0(VALU_DEP_1) | instskip(NEXT) | instid1(VALU_DEP_2)
	v_fma_f32 v52, v247, 2.0, -v54
	v_fma_f32 v53, v248, 2.0, -v55
	s_wait_loadcnt 0x0
	ds_store_b128 v56, v[52:55]
	v_dual_sub_f32 v54, v66, v72 :: v_dual_sub_f32 v55, v67, v73
	s_delay_alu instid0(VALU_DEP_1) | instskip(NEXT) | instid1(VALU_DEP_2)
	v_fma_f32 v52, v66, 2.0, -v54
	v_fma_f32 v53, v67, 2.0, -v55
	ds_store_b128 v91, v[52:55]
	v_dual_sub_f32 v54, v68, v74 :: v_dual_sub_f32 v55, v69, v75
	s_delay_alu instid0(VALU_DEP_1) | instskip(NEXT) | instid1(VALU_DEP_2)
	v_fma_f32 v52, v68, 2.0, -v54
	v_fma_f32 v53, v69, 2.0, -v55
	;; [unrolled: 5-line block ×4, first 2 shown]
	ds_store_b128 v88, v[52:55]
	global_wb scope:SCOPE_SE
	s_wait_dscnt 0x0
	s_barrier_signal -1
	s_barrier_wait -1
	global_inv scope:SCOPE_SE
	ds_load_2addr_b64 v[52:55], v227 offset0:112 offset1:164
	s_wait_dscnt 0x0
	v_mul_f32_e32 v56, v61, v53
	v_mul_f32_e32 v68, v61, v55
	s_delay_alu instid0(VALU_DEP_2) | instskip(SKIP_1) | instid1(VALU_DEP_3)
	v_fmac_f32_e32 v56, v60, v52
	v_mul_f32_e32 v52, v61, v52
	v_fmac_f32_e32 v68, v60, v54
	s_delay_alu instid0(VALU_DEP_2) | instskip(SKIP_1) | instid1(VALU_DEP_1)
	v_fma_f32 v57, v60, v53, -v52
	v_mul_f32_e32 v52, v61, v54
	v_fma_f32 v69, v60, v55, -v52
	ds_load_2addr_b64 v[52:55], v25 offset0:88 offset1:140
	s_wait_dscnt 0x0
	v_mul_f32_e32 v25, v61, v52
	v_mul_f32_e32 v70, v61, v53
	;; [unrolled: 1-line block ×3, first 2 shown]
	s_delay_alu instid0(VALU_DEP_3) | instskip(NEXT) | instid1(VALU_DEP_3)
	v_fma_f32 v80, v60, v53, -v25
	v_dual_mul_f32 v25, v61, v54 :: v_dual_fmac_f32 v70, v60, v52
	s_delay_alu instid0(VALU_DEP_3) | instskip(NEXT) | instid1(VALU_DEP_2)
	v_fmac_f32_e32 v81, v60, v54
	v_fma_f32 v82, v60, v55, -v25
	ds_load_2addr_b64 v[52:55], v228 offset0:64 offset1:116
	s_wait_dscnt 0x0
	v_mul_f32_e32 v88, v61, v55
	v_mul_f32_e32 v83, v61, v53
	s_delay_alu instid0(VALU_DEP_2) | instskip(NEXT) | instid1(VALU_DEP_2)
	v_dual_mul_f32 v25, v61, v52 :: v_dual_fmac_f32 v88, v60, v54
	v_fmac_f32_e32 v83, v60, v52
	s_delay_alu instid0(VALU_DEP_2) | instskip(SKIP_1) | instid1(VALU_DEP_1)
	v_fma_f32 v84, v60, v53, -v25
	v_mul_f32_e32 v25, v61, v54
	v_fma_f32 v89, v60, v55, -v25
	ds_load_2addr_b64 v[52:55], v228 offset0:168 offset1:220
	s_wait_dscnt 0x0
	v_mul_f32_e32 v90, v61, v53
	v_mul_f32_e32 v92, v61, v55
	s_delay_alu instid0(VALU_DEP_2) | instskip(NEXT) | instid1(VALU_DEP_2)
	v_fmac_f32_e32 v90, v60, v52
	v_dual_mul_f32 v25, v61, v52 :: v_dual_fmac_f32 v92, v60, v54
	s_delay_alu instid0(VALU_DEP_1) | instskip(SKIP_1) | instid1(VALU_DEP_1)
	v_fma_f32 v91, v60, v53, -v25
	v_mul_f32_e32 v25, v61, v54
	v_fma_f32 v93, v60, v55, -v25
	ds_load_2addr_b64 v[52:55], v24 offset0:16 offset1:68
	s_wait_dscnt 0x0
	v_mul_f32_e32 v94, v61, v53
	s_delay_alu instid0(VALU_DEP_1) | instskip(SKIP_1) | instid1(VALU_DEP_2)
	v_dual_mul_f32 v205, v61, v55 :: v_dual_fmac_f32 v94, v60, v52
	v_mul_f32_e32 v25, v61, v52
	v_fmac_f32_e32 v205, v60, v54
	s_delay_alu instid0(VALU_DEP_2) | instskip(SKIP_1) | instid1(VALU_DEP_1)
	v_fma_f32 v95, v60, v53, -v25
	v_mul_f32_e32 v25, v61, v54
	v_fma_f32 v206, v60, v55, -v25
	ds_load_2addr_b64 v[52:55], v24 offset0:120 offset1:172
	s_wait_dscnt 0x0
	v_mul_f32_e32 v234, v61, v55
	v_mul_f32_e32 v24, v61, v52
	s_delay_alu instid0(VALU_DEP_2) | instskip(NEXT) | instid1(VALU_DEP_2)
	v_dual_fmac_f32 v234, v60, v54 :: v_dual_mul_f32 v207, v61, v53
	v_fma_f32 v233, v60, v53, -v24
	s_delay_alu instid0(VALU_DEP_2) | instskip(NEXT) | instid1(VALU_DEP_1)
	v_dual_mul_f32 v24, v61, v54 :: v_dual_fmac_f32 v207, v60, v52
	v_fma_f32 v235, v60, v55, -v24
	ds_load_2addr_b64 v[52:55], v209 offset1:52
	s_wait_dscnt 0x0
	v_dual_sub_f32 v24, v52, v56 :: v_dual_sub_f32 v25, v53, v57
	ds_load_2addr_b64 v[56:59], v209 offset0:104 offset1:156
	ds_load_2addr_b64 v[60:63], v229 offset0:80 offset1:132
	;; [unrolled: 1-line block ×5, first 2 shown]
	global_wb scope:SCOPE_SE
	s_wait_dscnt 0x0
	s_barrier_signal -1
	s_barrier_wait -1
	global_inv scope:SCOPE_SE
	scratch_load_b32 v236, off, off offset:16 th:TH_LOAD_LU ; 4-byte Folded Reload
	v_fma_f32 v52, v52, 2.0, -v24
	v_fma_f32 v53, v53, 2.0, -v25
	s_wait_loadcnt 0x0
	ds_store_2addr_b64 v236, v[52:53], v[24:25] offset1:2
	v_dual_sub_f32 v24, v54, v68 :: v_dual_sub_f32 v25, v55, v69
	v_dual_sub_f32 v68, v66, v92 :: v_dual_sub_f32 v69, v67, v93
	s_delay_alu instid0(VALU_DEP_2) | instskip(NEXT) | instid1(VALU_DEP_3)
	v_fma_f32 v52, v54, 2.0, -v24
	v_fma_f32 v53, v55, 2.0, -v25
	s_delay_alu instid0(VALU_DEP_3) | instskip(NEXT) | instid1(VALU_DEP_4)
	v_fma_f32 v54, v66, 2.0, -v68
	v_fma_f32 v55, v67, 2.0, -v69
	ds_store_2addr_b64 v87, v[52:53], v[24:25] offset1:2
	v_dual_sub_f32 v24, v56, v70 :: v_dual_sub_f32 v25, v57, v80
	s_delay_alu instid0(VALU_DEP_1) | instskip(NEXT) | instid1(VALU_DEP_2)
	v_fma_f32 v52, v56, 2.0, -v24
	v_fma_f32 v53, v57, 2.0, -v25
	v_dual_sub_f32 v56, v74, v205 :: v_dual_sub_f32 v57, v75, v206
	ds_store_2addr_b64 v86, v[52:53], v[24:25] offset1:2
	v_dual_sub_f32 v24, v58, v81 :: v_dual_sub_f32 v25, v59, v82
	s_delay_alu instid0(VALU_DEP_1) | instskip(NEXT) | instid1(VALU_DEP_2)
	v_fma_f32 v52, v58, 2.0, -v24
	v_fma_f32 v53, v59, 2.0, -v25
	ds_store_2addr_b64 v85, v[52:53], v[24:25] offset1:2
	v_dual_sub_f32 v24, v60, v83 :: v_dual_sub_f32 v25, v61, v84
	s_delay_alu instid0(VALU_DEP_1) | instskip(SKIP_1) | instid1(VALU_DEP_3)
	v_fma_f32 v52, v60, 2.0, -v24
	v_sub_f32_e32 v60, v72, v94
	v_fma_f32 v53, v61, 2.0, -v25
	v_sub_f32_e32 v61, v73, v95
	s_delay_alu instid0(VALU_DEP_3) | instskip(SKIP_4) | instid1(VALU_DEP_2)
	v_fma_f32 v70, v72, 2.0, -v60
	scratch_load_b32 v72, off, off offset:32 th:TH_LOAD_LU ; 4-byte Folded Reload
	ds_store_2addr_b64 v71, v[52:53], v[24:25] offset1:2
	v_dual_sub_f32 v24, v62, v88 :: v_dual_sub_f32 v25, v63, v89
	v_fma_f32 v71, v73, 2.0, -v61
	v_fma_f32 v52, v62, 2.0, -v24
	s_delay_alu instid0(VALU_DEP_3)
	v_fma_f32 v53, v63, 2.0, -v25
	v_fma_f32 v62, v74, 2.0, -v56
	;; [unrolled: 1-line block ×3, first 2 shown]
	ds_store_2addr_b64 v255, v[52:53], v[24:25] offset1:2
	v_dual_sub_f32 v52, v64, v90 :: v_dual_sub_f32 v53, v65, v91
	v_dual_sub_f32 v24, v78, v234 :: v_dual_sub_f32 v25, v79, v235
	s_delay_alu instid0(VALU_DEP_2) | instskip(SKIP_1) | instid1(VALU_DEP_4)
	v_fma_f32 v80, v64, 2.0, -v52
	v_sub_f32_e32 v64, v76, v207
	v_fma_f32 v81, v65, 2.0, -v53
	v_sub_f32_e32 v65, v77, v233
	v_fma_f32 v66, v78, 2.0, -v24
	v_fma_f32 v67, v79, 2.0, -v25
	;; [unrolled: 1-line block ×3, first 2 shown]
	s_delay_alu instid0(VALU_DEP_4)
	v_fma_f32 v59, v77, 2.0, -v65
	s_wait_loadcnt 0x0
	ds_store_2addr_b64 v72, v[80:81], v[52:53] offset1:2
	scratch_load_b32 v72, off, off offset:28 th:TH_LOAD_LU ; 4-byte Folded Reload
	s_wait_loadcnt 0x0
	ds_store_2addr_b64 v72, v[54:55], v[68:69] offset1:2
	scratch_load_b32 v72, off, off offset:20 th:TH_LOAD_LU ; 4-byte Folded Reload
	s_wait_loadcnt 0x0
	ds_store_2addr_b64 v72, v[70:71], v[60:61] offset1:2
	scratch_load_b32 v72, off, off offset:12 th:TH_LOAD_LU ; 4-byte Folded Reload
	s_wait_loadcnt 0x0
	ds_store_2addr_b64 v72, v[62:63], v[56:57] offset1:2
	scratch_load_b32 v72, off, off offset:8 th:TH_LOAD_LU ; 4-byte Folded Reload
	s_wait_loadcnt 0x0
	ds_store_2addr_b64 v72, v[58:59], v[64:65] offset1:2
	scratch_load_b32 v72, off, off offset:4 th:TH_LOAD_LU ; 4-byte Folded Reload
	s_wait_loadcnt 0x0
	ds_store_2addr_b64 v72, v[66:67], v[24:25] offset1:2
	global_wb scope:SCOPE_SE
	s_wait_dscnt 0x0
	s_barrier_signal -1
	s_barrier_wait -1
	global_inv scope:SCOPE_SE
	ds_load_b64 v[205:206], v209 offset:9216
	ds_load_2addr_b64 v[88:91], v230 offset0:128 offset1:224
	ds_load_2addr_b64 v[72:75], v209 offset1:96
	ds_load_2addr_b64 v[92:95], v229 offset0:64 offset1:160
	ds_load_2addr_b64 v[84:87], v227 offset0:64 offset1:160
	ds_load_2addr_b64 v[80:83], v228 offset1:96
	ds_load_2addr_b64 v[76:79], v232 offset0:64 offset1:160
	s_and_saveexec_b32 s2, vcc_lo
	s_cbranch_execz .LBB0_7
; %bb.6:
	ds_load_2addr_b64 v[52:55], v209 offset0:52 offset1:148
	ds_load_2addr_b64 v[68:71], v229 offset0:116 offset1:212
	;; [unrolled: 1-line block ×6, first 2 shown]
	ds_load_b64 v[145:146], v209 offset:9632
.LBB0_7:
	s_wait_alu 0xfffe
	s_or_b32 exec_lo, exec_lo, s2
	s_wait_dscnt 0x3
	v_dual_mul_f32 v207, v1, v75 :: v_dual_mul_f32 v228, v3, v93
	v_mul_f32_e32 v227, v1, v74
	v_dual_mul_f32 v229, v3, v92 :: v_dual_mul_f32 v230, v13, v95
	s_delay_alu instid0(VALU_DEP_3) | instskip(NEXT) | instid1(VALU_DEP_3)
	v_dual_fmac_f32 v207, v0, v74 :: v_dual_fmac_f32 v228, v2, v92
	v_fma_f32 v74, v0, v75, -v227
	v_mul_f32_e32 v75, v13, v94
	s_delay_alu instid0(VALU_DEP_4)
	v_dual_fmac_f32 v230, v12, v94 :: v_dual_mul_f32 v227, v15, v88
	v_mul_f32_e32 v94, v15, v89
	v_mul_f32_e32 v92, v5, v91
	v_fma_f32 v93, v2, v93, -v229
	global_wb scope:SCOPE_SE
	s_wait_dscnt 0x0
	v_fma_f32 v227, v14, v89, -v227
	v_fmac_f32_e32 v94, v14, v88
	v_fma_f32 v95, v12, v95, -v75
	v_dual_mul_f32 v75, v5, v90 :: v_dual_mul_f32 v88, v7, v85
	v_mul_f32_e32 v229, v11, v81
	s_barrier_signal -1
	s_barrier_wait -1
	s_delay_alu instid0(VALU_DEP_2) | instskip(SKIP_4) | instid1(VALU_DEP_4)
	v_fma_f32 v89, v4, v91, -v75
	v_dual_mul_f32 v75, v7, v84 :: v_dual_fmac_f32 v92, v4, v90
	v_dual_add_f32 v90, v72, v207 :: v_dual_add_f32 v91, v73, v74
	v_fmac_f32_e32 v88, v6, v84
	v_mul_f32_e32 v84, v9, v87
	v_fma_f32 v85, v6, v85, -v75
	s_delay_alu instid0(VALU_DEP_4) | instskip(SKIP_3) | instid1(VALU_DEP_4)
	v_dual_add_f32 v75, v90, v228 :: v_dual_add_f32 v90, v91, v93
	v_fmac_f32_e32 v229, v10, v80
	v_mul_f32_e32 v91, v9, v86
	v_fmac_f32_e32 v84, v8, v86
	v_dual_add_f32 v75, v75, v230 :: v_dual_add_f32 v90, v90, v95
	global_inv scope:SCOPE_SE
	v_fma_f32 v86, v8, v87, -v91
	v_mul_f32_e32 v87, v11, v80
	v_dual_add_f32 v75, v75, v94 :: v_dual_add_f32 v80, v90, v227
	v_dual_mul_f32 v90, v17, v83 :: v_dual_mul_f32 v91, v23, v206
	s_delay_alu instid0(VALU_DEP_3) | instskip(NEXT) | instid1(VALU_DEP_3)
	v_fma_f32 v81, v10, v81, -v87
	v_add_f32_e32 v75, v75, v92
	s_delay_alu instid0(VALU_DEP_4) | instskip(NEXT) | instid1(VALU_DEP_4)
	v_dual_mul_f32 v87, v17, v82 :: v_dual_add_f32 v80, v80, v89
	v_fmac_f32_e32 v90, v16, v82
	v_mul_f32_e32 v82, v19, v77
	s_delay_alu instid0(VALU_DEP_4) | instskip(NEXT) | instid1(VALU_DEP_4)
	v_add_f32_e32 v75, v75, v88
	v_fma_f32 v83, v16, v83, -v87
	v_dual_add_f32 v80, v80, v85 :: v_dual_mul_f32 v87, v19, v76
	v_fmac_f32_e32 v91, v22, v205
	s_delay_alu instid0(VALU_DEP_2) | instskip(NEXT) | instid1(VALU_DEP_3)
	v_dual_add_f32 v75, v75, v84 :: v_dual_add_f32 v80, v80, v86
	v_fma_f32 v77, v18, v77, -v87
	v_mul_f32_e32 v87, v23, v205
	s_delay_alu instid0(VALU_DEP_3) | instskip(NEXT) | instid1(VALU_DEP_4)
	v_add_f32_e32 v75, v75, v229
	v_add_f32_e32 v80, v80, v81
	s_delay_alu instid0(VALU_DEP_3) | instskip(NEXT) | instid1(VALU_DEP_2)
	v_fma_f32 v87, v22, v206, -v87
	v_dual_add_f32 v75, v75, v90 :: v_dual_add_f32 v80, v80, v83
	s_delay_alu instid0(VALU_DEP_2) | instskip(SKIP_2) | instid1(VALU_DEP_2)
	v_sub_f32_e32 v205, v74, v87
	v_fmac_f32_e32 v82, v18, v76
	v_mul_f32_e32 v76, v21, v79
	v_dual_mul_f32 v206, 0xbeedf032, v205 :: v_dual_add_f32 v75, v75, v82
	s_delay_alu instid0(VALU_DEP_2) | instskip(SKIP_3) | instid1(VALU_DEP_4)
	v_fmac_f32_e32 v76, v20, v78
	v_dual_mul_f32 v78, v21, v78 :: v_dual_add_f32 v231, v74, v87
	v_mul_f32_e32 v236, 0xbf7e222b, v205
	v_mul_f32_e32 v244, 0xbf29c268, v205
	v_add_f32_e32 v74, v75, v76
	s_delay_alu instid0(VALU_DEP_4) | instskip(SKIP_2) | instid1(VALU_DEP_4)
	v_fma_f32 v78, v20, v79, -v78
	v_dual_add_f32 v79, v80, v77 :: v_dual_add_f32 v80, v207, v91
	v_mul_f32_e32 v232, 0x3f62ad3f, v231
	v_add_f32_e32 v74, v74, v91
	s_delay_alu instid0(VALU_DEP_3) | instskip(SKIP_3) | instid1(VALU_DEP_4)
	v_dual_mul_f32 v238, 0x3df6dbef, v231 :: v_dual_add_f32 v75, v79, v78
	v_sub_f32_e32 v79, v207, v91
	v_fmamk_f32 v207, v80, 0x3f62ad3f, v206
	v_mul_f32_e32 v242, 0xbeb58ec6, v231
	v_add_f32_e32 v75, v75, v87
	s_delay_alu instid0(VALU_DEP_3) | instskip(SKIP_4) | instid1(VALU_DEP_4)
	v_add_f32_e32 v87, v72, v207
	v_mul_f32_e32 v207, 0xbf52af12, v205
	v_fmamk_f32 v237, v80, 0x3df6dbef, v236
	v_fma_f32 v236, 0x3df6dbef, v80, -v236
	v_dual_mul_f32 v245, 0xbf3f9e67, v231 :: v_dual_fmamk_f32 v246, v80, 0xbf3f9e67, v244
	v_fmamk_f32 v234, v80, 0x3f116cb1, v207
	v_fmamk_f32 v91, v79, 0x3eedf032, v232
	v_fma_f32 v207, 0x3f116cb1, v80, -v207
	v_fmamk_f32 v240, v79, 0x3f7e222b, v238
	s_delay_alu instid0(VALU_DEP_4) | instskip(NEXT) | instid1(VALU_DEP_4)
	v_dual_mul_f32 v233, 0x3f116cb1, v231 :: v_dual_add_f32 v234, v72, v234
	v_add_f32_e32 v91, v73, v91
	s_delay_alu instid0(VALU_DEP_3) | instskip(NEXT) | instid1(VALU_DEP_3)
	v_dual_add_f32 v207, v72, v207 :: v_dual_add_f32 v240, v73, v240
	v_dual_fmamk_f32 v235, v79, 0x3f52af12, v233 :: v_dual_add_f32 v236, v72, v236
	v_mul_f32_e32 v239, 0xbf6f5d39, v205
	v_dual_fmamk_f32 v243, v79, 0x3f6f5d39, v242 :: v_dual_add_f32 v246, v72, v246
	s_delay_alu instid0(VALU_DEP_3) | instskip(SKIP_2) | instid1(VALU_DEP_4)
	v_add_f32_e32 v235, v73, v235
	v_mul_f32_e32 v205, 0xbe750f2a, v205
	v_fma_f32 v206, 0x3f62ad3f, v80, -v206
	v_add_f32_e32 v243, v73, v243
	v_dual_add_f32 v237, v72, v237 :: v_dual_fmac_f32 v238, 0xbf7e222b, v79
	s_delay_alu instid0(VALU_DEP_4)
	v_fmamk_f32 v248, v80, 0xbf788fa5, v205
	v_fmac_f32_e32 v242, 0xbf6f5d39, v79
	v_fmamk_f32 v241, v80, 0xbeb58ec6, v239
	v_fma_f32 v239, 0xbeb58ec6, v80, -v239
	v_fma_f32 v244, 0xbf3f9e67, v80, -v244
	v_fmamk_f32 v247, v79, 0x3f29c268, v245
	v_dual_fmac_f32 v245, 0xbf29c268, v79 :: v_dual_add_f32 v248, v72, v248
	v_fma_f32 v80, 0xbf788fa5, v80, -v205
	v_sub_f32_e32 v249, v93, v78
	v_dual_add_f32 v78, v93, v78 :: v_dual_fmac_f32 v233, 0xbf52af12, v79
	v_add_f32_e32 v238, v73, v238
	v_fmac_f32_e32 v232, 0xbeedf032, v79
	v_mul_f32_e32 v231, 0xbf788fa5, v231
	v_add_f32_e32 v251, v228, v76
	v_dual_sub_f32 v76, v228, v76 :: v_dual_mul_f32 v93, 0x3f116cb1, v78
	v_dual_add_f32 v206, v72, v206 :: v_dual_add_f32 v233, v73, v233
	v_dual_add_f32 v232, v73, v232 :: v_dual_add_f32 v239, v72, v239
	v_fmamk_f32 v250, v79, 0x3e750f2a, v231
	v_dual_add_f32 v242, v73, v242 :: v_dual_add_f32 v241, v72, v241
	v_dual_add_f32 v244, v72, v244 :: v_dual_add_f32 v245, v73, v245
	v_add_f32_e32 v72, v72, v80
	v_dual_fmamk_f32 v80, v76, 0x3f52af12, v93 :: v_dual_add_f32 v247, v73, v247
	v_dual_mul_f32 v252, 0xbf52af12, v249 :: v_dual_fmac_f32 v93, 0xbf52af12, v76
	s_delay_alu instid0(VALU_DEP_2) | instskip(NEXT) | instid1(VALU_DEP_2)
	v_dual_add_f32 v205, v73, v250 :: v_dual_add_f32 v80, v80, v91
	v_dual_mul_f32 v250, 0xbf3f9e67, v78 :: v_dual_add_f32 v93, v93, v232
	v_mul_f32_e32 v232, 0xbe750f2a, v249
	s_delay_alu instid0(VALU_DEP_4) | instskip(SKIP_1) | instid1(VALU_DEP_2)
	v_fma_f32 v228, 0x3f116cb1, v251, -v252
	v_fmac_f32_e32 v231, 0xbe750f2a, v79
	v_dual_fmamk_f32 v79, v251, 0x3f116cb1, v252 :: v_dual_add_f32 v206, v228, v206
	s_delay_alu instid0(VALU_DEP_2) | instskip(SKIP_1) | instid1(VALU_DEP_1)
	v_add_f32_e32 v73, v73, v231
	v_mul_f32_e32 v231, 0xbeb58ec6, v78
	v_fmamk_f32 v228, v76, 0x3f6f5d39, v231
	s_delay_alu instid0(VALU_DEP_1) | instskip(SKIP_2) | instid1(VALU_DEP_1)
	v_dual_add_f32 v228, v228, v235 :: v_dual_mul_f32 v235, 0xbf788fa5, v78
	v_add_f32_e32 v79, v79, v87
	v_mul_f32_e32 v87, 0xbf6f5d39, v249
	v_fmamk_f32 v91, v251, 0xbeb58ec6, v87
	v_fma_f32 v87, 0xbeb58ec6, v251, -v87
	s_delay_alu instid0(VALU_DEP_2) | instskip(SKIP_2) | instid1(VALU_DEP_1)
	v_add_f32_e32 v91, v91, v234
	v_fmamk_f32 v234, v251, 0xbf788fa5, v232
	v_fma_f32 v232, 0xbf788fa5, v251, -v232
	v_dual_add_f32 v87, v87, v207 :: v_dual_add_f32 v232, v232, v236
	v_fmac_f32_e32 v231, 0xbf6f5d39, v76
	s_delay_alu instid0(VALU_DEP_1) | instskip(SKIP_2) | instid1(VALU_DEP_2)
	v_add_f32_e32 v207, v231, v233
	v_mul_f32_e32 v231, 0x3f29c268, v249
	v_dual_add_f32 v233, v234, v237 :: v_dual_fmamk_f32 v234, v76, 0x3e750f2a, v235
	v_fmamk_f32 v237, v251, 0xbf3f9e67, v231
	v_fma_f32 v231, 0xbf3f9e67, v251, -v231
	s_delay_alu instid0(VALU_DEP_3) | instskip(SKIP_2) | instid1(VALU_DEP_4)
	v_add_f32_e32 v234, v234, v240
	v_mul_f32_e32 v240, 0x3df6dbef, v78
	v_mul_f32_e32 v78, 0x3f62ad3f, v78
	v_dual_add_f32 v236, v237, v241 :: v_dual_add_f32 v231, v231, v239
	v_fmamk_f32 v237, v76, 0xbf29c268, v250
	s_delay_alu instid0(VALU_DEP_4) | instskip(SKIP_2) | instid1(VALU_DEP_4)
	v_fmamk_f32 v239, v76, 0xbf7e222b, v240
	v_fmac_f32_e32 v240, 0x3f7e222b, v76
	v_fmac_f32_e32 v235, 0xbe750f2a, v76
	v_dual_fmac_f32 v250, 0x3f29c268, v76 :: v_dual_add_f32 v237, v237, v243
	v_mul_f32_e32 v243, 0x3eedf032, v249
	s_delay_alu instid0(VALU_DEP_3) | instskip(SKIP_1) | instid1(VALU_DEP_1)
	v_dual_add_f32 v240, v240, v245 :: v_dual_add_f32 v235, v235, v238
	v_mul_f32_e32 v238, 0x3f7e222b, v249
	v_dual_add_f32 v242, v250, v242 :: v_dual_fmamk_f32 v241, v251, 0x3df6dbef, v238
	v_fma_f32 v238, 0x3df6dbef, v251, -v238
	s_delay_alu instid0(VALU_DEP_2) | instskip(NEXT) | instid1(VALU_DEP_2)
	v_dual_add_f32 v241, v241, v246 :: v_dual_fmamk_f32 v246, v251, 0x3f62ad3f, v243
	v_add_f32_e32 v238, v238, v244
	s_delay_alu instid0(VALU_DEP_2) | instskip(SKIP_1) | instid1(VALU_DEP_2)
	v_dual_sub_f32 v244, v95, v77 :: v_dual_add_f32 v245, v246, v248
	v_fmamk_f32 v246, v76, 0xbeedf032, v78
	v_dual_mul_f32 v248, 0xbf7e222b, v244 :: v_dual_add_f32 v239, v239, v247
	v_fmac_f32_e32 v78, 0x3eedf032, v76
	v_sub_f32_e32 v76, v230, v82
	v_add_f32_e32 v247, v230, v82
	v_add_f32_e32 v77, v95, v77
	v_fma_f32 v95, 0x3f62ad3f, v251, -v243
	v_add_f32_e32 v73, v78, v73
	s_delay_alu instid0(VALU_DEP_4) | instskip(NEXT) | instid1(VALU_DEP_4)
	v_dual_add_f32 v205, v246, v205 :: v_dual_fmamk_f32 v82, v247, 0x3df6dbef, v248
	v_mul_f32_e32 v230, 0x3df6dbef, v77
	s_delay_alu instid0(VALU_DEP_4) | instskip(NEXT) | instid1(VALU_DEP_2)
	v_dual_add_f32 v72, v95, v72 :: v_dual_mul_f32 v243, 0xbf788fa5, v77
	v_dual_add_f32 v78, v82, v79 :: v_dual_fmamk_f32 v79, v76, 0x3f7e222b, v230
	v_mul_f32_e32 v82, 0xbe750f2a, v244
	v_fmac_f32_e32 v230, 0xbf7e222b, v76
	v_fma_f32 v95, 0x3df6dbef, v247, -v248
	s_delay_alu instid0(VALU_DEP_2) | instskip(NEXT) | instid1(VALU_DEP_2)
	v_add_f32_e32 v93, v230, v93
	v_dual_add_f32 v95, v95, v206 :: v_dual_fmamk_f32 v206, v76, 0x3e750f2a, v243
	v_add_f32_e32 v79, v79, v80
	v_fmamk_f32 v80, v247, 0xbf788fa5, v82
	v_mul_f32_e32 v230, 0x3f6f5d39, v244
	v_fma_f32 v82, 0xbf788fa5, v247, -v82
	v_mul_f32_e32 v246, 0x3f62ad3f, v77
	s_delay_alu instid0(VALU_DEP_4) | instskip(NEXT) | instid1(VALU_DEP_4)
	v_dual_add_f32 v80, v80, v91 :: v_dual_add_f32 v91, v206, v228
	v_fmamk_f32 v206, v247, 0xbeb58ec6, v230
	v_mul_f32_e32 v228, 0xbeb58ec6, v77
	v_fma_f32 v230, 0xbeb58ec6, v247, -v230
	v_add_f32_e32 v82, v82, v87
	s_delay_alu instid0(VALU_DEP_3) | instskip(SKIP_1) | instid1(VALU_DEP_2)
	v_dual_add_f32 v206, v206, v233 :: v_dual_fmamk_f32 v233, v76, 0xbf6f5d39, v228
	v_fmac_f32_e32 v228, 0x3f6f5d39, v76
	v_dual_add_f32 v230, v230, v232 :: v_dual_add_f32 v233, v233, v234
	s_delay_alu instid0(VALU_DEP_2) | instskip(SKIP_2) | instid1(VALU_DEP_3)
	v_dual_fmac_f32 v243, 0xbe750f2a, v76 :: v_dual_add_f32 v228, v228, v235
	v_fmamk_f32 v234, v76, 0xbeedf032, v246
	v_mul_f32_e32 v235, 0xbf52af12, v244
	v_dual_fmac_f32 v246, 0x3eedf032, v76 :: v_dual_add_f32 v87, v243, v207
	s_delay_alu instid0(VALU_DEP_3) | instskip(NEXT) | instid1(VALU_DEP_3)
	v_dual_mul_f32 v207, 0x3eedf032, v244 :: v_dual_add_f32 v234, v234, v237
	v_fmamk_f32 v237, v247, 0x3f116cb1, v235
	v_fma_f32 v235, 0x3f116cb1, v247, -v235
	s_delay_alu instid0(VALU_DEP_3) | instskip(SKIP_1) | instid1(VALU_DEP_1)
	v_fmamk_f32 v243, v247, 0x3f62ad3f, v207
	v_fma_f32 v207, 0x3f62ad3f, v247, -v207
	v_dual_add_f32 v207, v207, v231 :: v_dual_add_f32 v242, v246, v242
	s_delay_alu instid0(VALU_DEP_3) | instskip(SKIP_3) | instid1(VALU_DEP_3)
	v_add_f32_e32 v232, v243, v236
	v_mul_f32_e32 v236, 0x3f116cb1, v77
	v_add_f32_e32 v237, v237, v241
	v_mul_f32_e32 v243, 0xbf29c268, v244
	v_fmamk_f32 v231, v76, 0x3f52af12, v236
	v_fmac_f32_e32 v236, 0xbf52af12, v76
	v_mul_f32_e32 v77, 0xbf3f9e67, v77
	v_add_f32_e32 v235, v235, v238
	v_sub_f32_e32 v238, v227, v83
	s_delay_alu instid0(VALU_DEP_4) | instskip(NEXT) | instid1(VALU_DEP_4)
	v_add_f32_e32 v236, v236, v240
	v_fmamk_f32 v240, v76, 0x3f29c268, v77
	v_fmac_f32_e32 v77, 0xbf29c268, v76
	s_delay_alu instid0(VALU_DEP_4) | instskip(SKIP_2) | instid1(VALU_DEP_3)
	v_dual_mul_f32 v244, 0xbf6f5d39, v238 :: v_dual_add_f32 v83, v227, v83
	v_add_f32_e32 v241, v94, v90
	v_dual_sub_f32 v76, v94, v90 :: v_dual_add_f32 v231, v231, v239
	v_mul_f32_e32 v94, 0xbeb58ec6, v83
	s_delay_alu instid0(VALU_DEP_3) | instskip(SKIP_1) | instid1(VALU_DEP_2)
	v_fmamk_f32 v90, v241, 0xbeb58ec6, v244
	v_add_f32_e32 v73, v77, v73
	v_dual_add_f32 v77, v90, v78 :: v_dual_fmamk_f32 v78, v76, 0x3f6f5d39, v94
	v_fmac_f32_e32 v94, 0xbf6f5d39, v76
	v_mul_f32_e32 v90, 0x3f29c268, v238
	s_delay_alu instid0(VALU_DEP_3) | instskip(SKIP_3) | instid1(VALU_DEP_4)
	v_dual_add_f32 v78, v78, v79 :: v_dual_fmamk_f32 v239, v247, 0xbf3f9e67, v243
	v_fma_f32 v227, 0xbf3f9e67, v247, -v243
	v_dual_add_f32 v205, v240, v205 :: v_dual_mul_f32 v240, 0xbf3f9e67, v83
	v_add_f32_e32 v93, v94, v93
	v_add_f32_e32 v239, v239, v245
	s_delay_alu instid0(VALU_DEP_4)
	v_add_f32_e32 v72, v227, v72
	v_fma_f32 v227, 0xbeb58ec6, v241, -v244
	v_fmamk_f32 v94, v76, 0xbf29c268, v240
	v_fmamk_f32 v79, v241, 0xbf3f9e67, v90
	v_fmac_f32_e32 v240, 0x3f29c268, v76
	v_mul_f32_e32 v243, 0x3df6dbef, v83
	v_add_f32_e32 v95, v227, v95
	v_mul_f32_e32 v227, 0x3eedf032, v238
	v_add_f32_e32 v79, v79, v80
	v_fma_f32 v80, 0xbf3f9e67, v241, -v90
	v_add_f32_e32 v90, v94, v91
	v_mul_f32_e32 v94, 0x3f62ad3f, v83
	s_delay_alu instid0(VALU_DEP_3) | instskip(SKIP_2) | instid1(VALU_DEP_2)
	v_add_f32_e32 v80, v80, v82
	v_dual_add_f32 v82, v240, v87 :: v_dual_fmamk_f32 v91, v241, 0x3f62ad3f, v227
	v_fma_f32 v227, 0x3f62ad3f, v241, -v227
	v_dual_add_f32 v91, v91, v206 :: v_dual_fmamk_f32 v206, v76, 0xbeedf032, v94
	s_delay_alu instid0(VALU_DEP_2) | instskip(NEXT) | instid1(VALU_DEP_2)
	v_dual_fmac_f32 v94, 0x3eedf032, v76 :: v_dual_add_f32 v227, v227, v230
	v_dual_mul_f32 v87, 0xbf7e222b, v238 :: v_dual_add_f32 v206, v206, v233
	s_delay_alu instid0(VALU_DEP_2) | instskip(NEXT) | instid1(VALU_DEP_2)
	v_dual_add_f32 v94, v94, v228 :: v_dual_mul_f32 v233, 0xbf788fa5, v83
	v_fmamk_f32 v240, v241, 0x3df6dbef, v87
	v_fma_f32 v87, 0x3df6dbef, v241, -v87
	v_fmamk_f32 v230, v76, 0x3f7e222b, v243
	s_delay_alu instid0(VALU_DEP_3) | instskip(NEXT) | instid1(VALU_DEP_3)
	v_dual_mul_f32 v83, 0x3f116cb1, v83 :: v_dual_add_f32 v228, v240, v232
	v_add_f32_e32 v87, v87, v207
	s_delay_alu instid0(VALU_DEP_3) | instskip(SKIP_1) | instid1(VALU_DEP_2)
	v_dual_fmac_f32 v243, 0xbf7e222b, v76 :: v_dual_add_f32 v230, v230, v234
	v_fmamk_f32 v207, v76, 0xbe750f2a, v233
	v_dual_fmac_f32 v233, 0x3e750f2a, v76 :: v_dual_add_f32 v240, v243, v242
	s_delay_alu instid0(VALU_DEP_2) | instskip(NEXT) | instid1(VALU_DEP_2)
	v_dual_mul_f32 v232, 0x3e750f2a, v238 :: v_dual_add_f32 v207, v207, v231
	v_dual_mul_f32 v238, 0x3f52af12, v238 :: v_dual_add_f32 v233, v233, v236
	v_fmamk_f32 v236, v76, 0xbf52af12, v83
	v_dual_fmac_f32 v83, 0x3f52af12, v76 :: v_dual_sub_f32 v76, v92, v229
	s_delay_alu instid0(VALU_DEP_3) | instskip(SKIP_2) | instid1(VALU_DEP_4)
	v_fmamk_f32 v231, v241, 0x3f116cb1, v238
	v_fmamk_f32 v234, v241, 0xbf788fa5, v232
	v_fma_f32 v232, 0xbf788fa5, v241, -v232
	v_add_f32_e32 v73, v83, v73
	v_add_f32_e32 v205, v236, v205
	s_delay_alu instid0(VALU_DEP_3) | instskip(SKIP_4) | instid1(VALU_DEP_2)
	v_dual_add_f32 v232, v232, v235 :: v_dual_sub_f32 v235, v89, v81
	v_dual_add_f32 v231, v231, v239 :: v_dual_add_f32 v234, v234, v237
	v_add_f32_e32 v81, v89, v81
	v_fma_f32 v89, 0x3f116cb1, v241, -v238
	v_add_f32_e32 v237, v92, v229
	v_dual_mul_f32 v229, 0xbf3f9e67, v81 :: v_dual_add_f32 v72, v89, v72
	v_mul_f32_e32 v89, 0x3f7e222b, v235
	s_delay_alu instid0(VALU_DEP_2) | instskip(NEXT) | instid1(VALU_DEP_1)
	v_fmamk_f32 v83, v76, 0x3f29c268, v229
	v_dual_mul_f32 v239, 0xbf29c268, v235 :: v_dual_add_f32 v78, v83, v78
	s_delay_alu instid0(VALU_DEP_3) | instskip(NEXT) | instid1(VALU_DEP_1)
	v_fmamk_f32 v83, v237, 0x3df6dbef, v89
	v_dual_fmamk_f32 v92, v237, 0xbf3f9e67, v239 :: v_dual_add_f32 v79, v83, v79
	v_fma_f32 v83, 0x3df6dbef, v237, -v89
	s_delay_alu instid0(VALU_DEP_1) | instskip(SKIP_1) | instid1(VALU_DEP_1)
	v_add_f32_e32 v80, v83, v80
	v_fmac_f32_e32 v229, 0xbf29c268, v76
	v_add_f32_e32 v93, v229, v93
	v_mul_f32_e32 v229, 0xbf52af12, v235
	v_add_f32_e32 v77, v92, v77
	v_fma_f32 v92, 0xbf3f9e67, v237, -v239
	s_delay_alu instid0(VALU_DEP_1) | instskip(SKIP_1) | instid1(VALU_DEP_1)
	v_add_f32_e32 v92, v92, v95
	v_mul_f32_e32 v236, 0x3df6dbef, v81
	v_fmamk_f32 v95, v76, 0xbf7e222b, v236
	s_delay_alu instid0(VALU_DEP_1) | instskip(SKIP_3) | instid1(VALU_DEP_3)
	v_dual_add_f32 v89, v95, v90 :: v_dual_fmamk_f32 v90, v237, 0x3f116cb1, v229
	v_mul_f32_e32 v95, 0x3f116cb1, v81
	v_fmac_f32_e32 v236, 0x3f7e222b, v76
	v_fma_f32 v229, 0x3f116cb1, v237, -v229
	v_dual_add_f32 v90, v90, v91 :: v_dual_fmamk_f32 v91, v76, 0x3f52af12, v95
	v_mul_f32_e32 v238, 0xbf788fa5, v81
	s_delay_alu instid0(VALU_DEP_4) | instskip(NEXT) | instid1(VALU_DEP_3)
	v_dual_add_f32 v82, v236, v82 :: v_dual_fmac_f32 v95, 0xbf52af12, v76
	v_add_f32_e32 v91, v91, v206
	v_mul_f32_e32 v83, 0x3e750f2a, v235
	s_delay_alu instid0(VALU_DEP_4) | instskip(SKIP_2) | instid1(VALU_DEP_4)
	v_dual_add_f32 v206, v229, v227 :: v_dual_fmamk_f32 v227, v76, 0xbe750f2a, v238
	v_mul_f32_e32 v229, 0x3f62ad3f, v81
	v_fmac_f32_e32 v238, 0x3e750f2a, v76
	v_fmamk_f32 v236, v237, 0xbf788fa5, v83
	v_fma_f32 v83, 0xbf788fa5, v237, -v83
	v_dual_add_f32 v94, v95, v94 :: v_dual_mul_f32 v81, 0xbeb58ec6, v81
	s_delay_alu instid0(VALU_DEP_4) | instskip(NEXT) | instid1(VALU_DEP_4)
	v_add_f32_e32 v238, v238, v240
	v_dual_add_f32 v95, v236, v228 :: v_dual_mul_f32 v228, 0x3eedf032, v235
	s_delay_alu instid0(VALU_DEP_4) | instskip(SKIP_3) | instid1(VALU_DEP_4)
	v_dual_add_f32 v236, v83, v87 :: v_dual_fmamk_f32 v83, v76, 0xbeedf032, v229
	v_fmac_f32_e32 v229, 0x3eedf032, v76
	v_mul_f32_e32 v87, 0xbf6f5d39, v235
	v_add_f32_e32 v235, v85, v86
	v_add_f32_e32 v207, v83, v207
	s_delay_alu instid0(VALU_DEP_4) | instskip(SKIP_3) | instid1(VALU_DEP_2)
	v_add_f32_e32 v229, v229, v233
	v_add_f32_e32 v233, v88, v84
	v_dual_add_f32 v227, v227, v230 :: v_dual_fmamk_f32 v230, v237, 0x3f62ad3f, v228
	v_fma_f32 v228, 0x3f62ad3f, v237, -v228
	v_dual_fmamk_f32 v83, v237, 0xbeb58ec6, v87 :: v_dual_add_f32 v230, v230, v234
	s_delay_alu instid0(VALU_DEP_2) | instskip(SKIP_3) | instid1(VALU_DEP_3)
	v_add_f32_e32 v228, v228, v232
	v_sub_f32_e32 v232, v85, v86
	v_fma_f32 v85, 0xbeb58ec6, v237, -v87
	v_mul_f32_e32 v86, 0xbf3f9e67, v235
	v_mul_f32_e32 v87, 0x3f52af12, v232
	s_delay_alu instid0(VALU_DEP_3)
	v_add_f32_e32 v239, v85, v72
	v_mul_f32_e32 v85, 0xbf29c268, v232
	v_sub_f32_e32 v237, v88, v84
	v_add_f32_e32 v231, v83, v231
	v_fmamk_f32 v83, v76, 0x3f6f5d39, v81
	v_mul_f32_e32 v84, 0xbf788fa5, v235
	v_fmamk_f32 v88, v233, 0x3f116cb1, v87
	v_fmac_f32_e32 v81, 0xbf6f5d39, v76
	v_mul_f32_e32 v234, 0xbe750f2a, v232
	s_delay_alu instid0(VALU_DEP_2) | instskip(SKIP_2) | instid1(VALU_DEP_4)
	v_add_f32_e32 v240, v81, v73
	v_fmamk_f32 v73, v237, 0x3e750f2a, v84
	v_mul_f32_e32 v81, 0x3eedf032, v232
	v_fmamk_f32 v76, v233, 0xbf788fa5, v234
	s_delay_alu instid0(VALU_DEP_3) | instskip(NEXT) | instid1(VALU_DEP_3)
	v_dual_fmac_f32 v84, 0xbe750f2a, v237 :: v_dual_add_f32 v73, v73, v78
	v_fmamk_f32 v78, v233, 0x3f62ad3f, v81
	v_fma_f32 v81, 0x3f62ad3f, v233, -v81
	s_delay_alu instid0(VALU_DEP_4) | instskip(NEXT) | instid1(VALU_DEP_4)
	v_add_f32_e32 v72, v76, v77
	v_add_f32_e32 v77, v84, v93
	v_fma_f32 v76, 0xbf788fa5, v233, -v234
	v_add_f32_e32 v78, v78, v79
	v_dual_add_f32 v80, v81, v80 :: v_dual_add_f32 v205, v83, v205
	s_delay_alu instid0(VALU_DEP_3) | instskip(NEXT) | instid1(VALU_DEP_1)
	v_dual_mul_f32 v83, 0x3f62ad3f, v235 :: v_dual_add_f32 v76, v76, v92
	v_fmamk_f32 v84, v237, 0xbeedf032, v83
	s_delay_alu instid0(VALU_DEP_1) | instskip(SKIP_1) | instid1(VALU_DEP_1)
	v_dual_add_f32 v79, v84, v89 :: v_dual_fmamk_f32 v84, v233, 0xbf3f9e67, v85
	v_fmac_f32_e32 v83, 0x3eedf032, v237
	v_add_f32_e32 v81, v83, v82
	s_delay_alu instid0(VALU_DEP_3) | instskip(SKIP_4) | instid1(VALU_DEP_4)
	v_dual_add_f32 v82, v84, v90 :: v_dual_fmamk_f32 v83, v237, 0x3f29c268, v86
	v_fma_f32 v84, 0xbf3f9e67, v233, -v85
	v_fmac_f32_e32 v86, 0xbf29c268, v237
	v_mul_f32_e32 v89, 0x3f116cb1, v235
	v_mul_f32_e32 v90, 0xbf6f5d39, v232
	v_dual_mul_f32 v93, 0xbeb58ec6, v235 :: v_dual_add_f32 v84, v84, v206
	s_delay_alu instid0(VALU_DEP_4) | instskip(NEXT) | instid1(VALU_DEP_4)
	v_dual_add_f32 v85, v86, v94 :: v_dual_add_f32 v86, v88, v95
	v_fmamk_f32 v88, v237, 0xbf52af12, v89
	v_mul_f32_e32 v206, 0x3df6dbef, v235
	v_add_f32_e32 v83, v83, v91
	v_fma_f32 v91, 0x3f116cb1, v233, -v87
	s_delay_alu instid0(VALU_DEP_4) | instskip(SKIP_2) | instid1(VALU_DEP_4)
	v_dual_fmamk_f32 v92, v233, 0xbeb58ec6, v90 :: v_dual_add_f32 v87, v88, v227
	v_fma_f32 v94, 0xbeb58ec6, v233, -v90
	v_mul_f32_e32 v95, 0x3f7e222b, v232
	v_dual_add_f32 v88, v91, v236 :: v_dual_fmamk_f32 v91, v237, 0x3f6f5d39, v93
	s_delay_alu instid0(VALU_DEP_4) | instskip(NEXT) | instid1(VALU_DEP_4)
	v_add_f32_e32 v90, v92, v230
	v_add_f32_e32 v92, v94, v228
	s_delay_alu instid0(VALU_DEP_4)
	v_fmamk_f32 v94, v233, 0x3df6dbef, v95
	v_fma_f32 v227, 0x3df6dbef, v233, -v95
	v_add_f32_e32 v91, v91, v207
	v_fmamk_f32 v207, v237, 0xbf7e222b, v206
	v_fmac_f32_e32 v206, 0x3f7e222b, v237
	v_fmac_f32_e32 v89, 0x3f52af12, v237
	v_dual_fmac_f32 v93, 0xbf6f5d39, v237 :: v_dual_add_f32 v94, v94, v231
	s_delay_alu instid0(VALU_DEP_4) | instskip(NEXT) | instid1(VALU_DEP_4)
	v_add_f32_e32 v95, v207, v205
	v_dual_add_f32 v205, v227, v239 :: v_dual_add_f32 v206, v206, v240
	s_delay_alu instid0(VALU_DEP_4) | instskip(NEXT) | instid1(VALU_DEP_4)
	v_add_f32_e32 v89, v89, v238
	v_add_f32_e32 v93, v93, v229
	ds_store_2addr_b64 v212, v[74:75], v[72:73] offset1:4
	ds_store_2addr_b64 v212, v[78:79], v[82:83] offset0:8 offset1:12
	ds_store_2addr_b64 v212, v[86:87], v[90:91] offset0:16 offset1:20
	ds_store_2addr_b64 v212, v[94:95], v[205:206] offset0:24 offset1:28
	ds_store_2addr_b64 v212, v[92:93], v[88:89] offset0:32 offset1:36
	ds_store_2addr_b64 v212, v[84:85], v[80:81] offset0:40 offset1:44
	ds_store_b64 v212, v[76:77] offset:384
	s_and_saveexec_b32 s2, vcc_lo
	s_cbranch_execz .LBB0_9
; %bb.8:
	v_dual_mul_f32 v73, v1, v55 :: v_dual_mul_f32 v72, v23, v146
	v_dual_mul_f32 v1, v1, v54 :: v_dual_mul_f32 v78, v7, v57
	v_mul_f32_e32 v79, v9, v59
	s_delay_alu instid0(VALU_DEP_3) | instskip(NEXT) | instid1(VALU_DEP_4)
	v_dual_fmac_f32 v73, v0, v54 :: v_dual_mul_f32 v74, v3, v69
	v_fmac_f32_e32 v72, v22, v145
	v_mul_f32_e32 v75, v23, v145
	v_dual_mul_f32 v23, v21, v27 :: v_dual_fmac_f32 v78, v6, v56
	s_delay_alu instid0(VALU_DEP_4) | instskip(NEXT) | instid1(VALU_DEP_3)
	v_fmac_f32_e32 v74, v2, v68
	v_fma_f32 v54, v22, v146, -v75
	v_sub_f32_e32 v22, v73, v72
	v_fma_f32 v75, v0, v55, -v1
	v_dual_mul_f32 v0, v21, v26 :: v_dual_mul_f32 v1, v3, v68
	v_fmac_f32_e32 v23, v20, v26
	s_delay_alu instid0(VALU_DEP_4) | instskip(SKIP_2) | instid1(VALU_DEP_4)
	v_dual_mul_f32 v77, 0xbf6f5d39, v22 :: v_dual_mul_f32 v26, v19, v25
	v_mul_f32_e32 v55, v13, v71
	v_add_f32_e32 v76, v54, v75
	v_sub_f32_e32 v21, v74, v23
	v_fma_f32 v20, v20, v27, -v0
	v_mul_f32_e32 v0, v19, v24
	v_fma_f32 v27, v2, v69, -v1
	v_dual_fmac_f32 v26, v18, v24 :: v_dual_fmac_f32 v55, v12, v70
	v_dual_mul_f32 v68, 0x3f29c268, v21 :: v_dual_mul_f32 v1, v13, v70
	s_delay_alu instid0(VALU_DEP_3) | instskip(NEXT) | instid1(VALU_DEP_3)
	v_dual_add_f32 v69, v20, v27 :: v_dual_mul_f32 v24, v15, v61
	v_sub_f32_e32 v13, v55, v26
	v_fma_f32 v18, v18, v25, -v0
	v_dual_mul_f32 v2, v15, v60 :: v_dual_mul_f32 v19, v17, v67
	s_delay_alu instid0(VALU_DEP_4) | instskip(NEXT) | instid1(VALU_DEP_4)
	v_fmac_f32_e32 v24, v14, v60
	v_mul_f32_e32 v70, 0x3eedf032, v13
	v_fma_f32 v25, v12, v71, -v1
	v_fmamk_f32 v1, v69, 0xbf3f9e67, v68
	v_fmamk_f32 v3, v76, 0xbeb58ec6, v77
	v_fmac_f32_e32 v19, v16, v66
	v_dual_fmac_f32 v79, v8, v58 :: v_dual_sub_f32 v82, v27, v20
	s_delay_alu instid0(VALU_DEP_3) | instskip(NEXT) | instid1(VALU_DEP_3)
	v_dual_sub_f32 v81, v75, v54 :: v_dual_add_f32 v0, v53, v3
	v_dual_sub_f32 v12, v24, v19 :: v_dual_mul_f32 v3, v7, v56
	s_delay_alu instid0(VALU_DEP_3) | instskip(SKIP_1) | instid1(VALU_DEP_4)
	v_mul_f32_e32 v84, 0x3f29c268, v82
	v_fma_f32 v68, 0xbf3f9e67, v69, -v68
	v_dual_add_f32 v0, v1, v0 :: v_dual_add_f32 v71, v18, v25
	s_delay_alu instid0(VALU_DEP_4) | instskip(SKIP_2) | instid1(VALU_DEP_4)
	v_dual_mul_f32 v60, 0xbf7e222b, v12 :: v_dual_sub_f32 v85, v25, v18
	v_fma_f32 v88, v6, v57, -v3
	v_add_f32_e32 v6, v19, v24
	v_fmamk_f32 v1, v71, 0x3f62ad3f, v70
	v_add_f32_e32 v15, v23, v74
	v_mul_f32_e32 v245, 0xbf6f5d39, v82
	v_mul_f32_e32 v92, 0xbf29c268, v13
	;; [unrolled: 1-line block ×3, first 2 shown]
	v_add_f32_e32 v0, v1, v0
	v_mul_f32_e32 v1, v17, v66
	v_dual_mul_f32 v66, v5, v63 :: v_dual_mul_f32 v17, v11, v65
	v_mul_f32_e32 v240, 0xbf788fa5, v71
	s_delay_alu instid0(VALU_DEP_3) | instskip(SKIP_1) | instid1(VALU_DEP_4)
	v_fma_f32 v16, v16, v67, -v1
	v_fma_f32 v67, v14, v61, -v2
	v_dual_fmac_f32 v66, v4, v62 :: v_dual_fmac_f32 v17, v10, v64
	v_dual_mul_f32 v2, v5, v62 :: v_dual_mul_f32 v1, v11, v64
	s_delay_alu instid0(VALU_DEP_3) | instskip(SKIP_1) | instid1(VALU_DEP_3)
	v_dual_add_f32 v62, v16, v67 :: v_dual_mul_f32 v5, 0x3eedf032, v21
	v_add_f32_e32 v7, v26, v55
	v_fma_f32 v64, v10, v65, -v1
	s_delay_alu instid0(VALU_DEP_4) | instskip(NEXT) | instid1(VALU_DEP_4)
	v_fma_f32 v65, v4, v63, -v2
	v_fmamk_f32 v1, v62, 0x3df6dbef, v60
	v_sub_f32_e32 v10, v78, v79
	v_add_f32_e32 v14, v72, v73
	v_mul_f32_e32 v2, v9, v58
	v_add_f32_e32 v80, v64, v65
	v_dual_sub_f32 v11, v66, v17 :: v_dual_add_f32 v0, v1, v0
	v_mul_f32_e32 v83, 0x3f52af12, v10
	v_mul_f32_e32 v58, 0x3eedf032, v85
	v_fma_f32 v4, 0xbf3f9e67, v15, -v84
	s_delay_alu instid0(VALU_DEP_4) | instskip(SKIP_3) | instid1(VALU_DEP_4)
	v_dual_mul_f32 v61, 0x3e750f2a, v11 :: v_dual_sub_f32 v90, v65, v64
	v_fmamk_f32 v57, v69, 0x3f62ad3f, v5
	v_mul_f32_e32 v3, 0xbe750f2a, v22
	v_fma_f32 v86, v8, v59, -v2
	v_fmamk_f32 v1, v80, 0xbf788fa5, v61
	v_mul_f32_e32 v63, 0xbf6f5d39, v81
	v_dual_sub_f32 v87, v67, v16 :: v_dual_add_f32 v8, v17, v66
	v_fma_f32 v2, 0x3f62ad3f, v7, -v58
	s_delay_alu instid0(VALU_DEP_4) | instskip(NEXT) | instid1(VALU_DEP_4)
	v_add_f32_e32 v0, v1, v0
	v_fma_f32 v1, 0xbeb58ec6, v14, -v63
	v_mul_f32_e32 v91, 0x3e750f2a, v90
	v_add_f32_e32 v89, v86, v88
	v_sub_f32_e32 v93, v88, v86
	v_dual_mul_f32 v95, 0xbf6f5d39, v11 :: v_dual_mul_f32 v228, 0xbf6f5d39, v90
	v_add_f32_e32 v1, v52, v1
	v_fma_f32 v56, 0xbf788fa5, v8, -v91
	v_fmamk_f32 v9, v89, 0x3f116cb1, v83
	v_fma_f32 v60, 0x3df6dbef, v62, -v60
	v_fmac_f32_e32 v63, 0xbeb58ec6, v14
	v_add_f32_e32 v1, v4, v1
	v_fmamk_f32 v4, v76, 0xbf788fa5, v3
	v_dual_fmac_f32 v84, 0xbf3f9e67, v15 :: v_dual_mul_f32 v233, 0xbf3f9e67, v89
	v_fma_f32 v61, 0xbf788fa5, v80, -v61
	v_fmac_f32_e32 v58, 0x3f62ad3f, v7
	s_delay_alu instid0(VALU_DEP_4) | instskip(SKIP_4) | instid1(VALU_DEP_4)
	v_dual_add_f32 v4, v53, v4 :: v_dual_add_f32 v1, v2, v1
	v_mul_f32_e32 v59, 0xbf7e222b, v87
	v_fma_f32 v83, 0x3f116cb1, v89, -v83
	v_mul_f32_e32 v238, 0xbf52af12, v90
	v_dual_mul_f32 v234, 0x3f116cb1, v76 :: v_dual_add_f32 v75, v75, v53
	v_fma_f32 v2, 0x3df6dbef, v6, -v59
	v_mul_f32_e32 v247, 0x3f29c268, v87
	s_delay_alu instid0(VALU_DEP_4) | instskip(SKIP_1) | instid1(VALU_DEP_4)
	v_fmamk_f32 v241, v8, 0x3f116cb1, v238
	v_add_f32_e32 v63, v52, v63
	v_dual_add_f32 v27, v27, v75 :: v_dual_add_f32 v2, v2, v1
	v_add_f32_e32 v1, v9, v0
	v_fmac_f32_e32 v59, 0x3df6dbef, v6
	s_delay_alu instid0(VALU_DEP_4) | instskip(NEXT) | instid1(VALU_DEP_4)
	v_dual_add_f32 v63, v84, v63 :: v_dual_mul_f32 v84, 0x3f62ad3f, v62
	v_add_f32_e32 v0, v56, v2
	v_add_f32_e32 v2, v57, v4
	v_fmamk_f32 v4, v71, 0xbf3f9e67, v92
	v_dual_mul_f32 v56, 0x3f52af12, v12 :: v_dual_add_f32 v9, v79, v78
	v_mul_f32_e32 v94, 0x3f52af12, v93
	v_fma_f32 v3, 0xbf788fa5, v76, -v3
	s_delay_alu instid0(VALU_DEP_4) | instskip(NEXT) | instid1(VALU_DEP_4)
	v_add_f32_e32 v2, v4, v2
	v_fmamk_f32 v4, v62, 0x3f116cb1, v56
	v_fma_f32 v5, 0x3f62ad3f, v69, -v5
	v_fma_f32 v145, 0x3f116cb1, v9, -v94
	v_add_f32_e32 v227, v53, v3
	v_mul_f32_e32 v205, 0x3eedf032, v82
	v_add_f32_e32 v2, v4, v2
	v_fmamk_f32 v4, v80, 0xbeb58ec6, v95
	v_dual_mul_f32 v57, 0xbe750f2a, v81 :: v_dual_add_f32 v0, v145, v0
	v_fma_f32 v95, 0xbeb58ec6, v80, -v95
	s_delay_alu instid0(VALU_DEP_3) | instskip(SKIP_1) | instid1(VALU_DEP_4)
	v_dual_mul_f32 v229, 0xbeb58ec6, v89 :: v_dual_add_f32 v2, v4, v2
	v_mul_f32_e32 v4, 0x3f7e222b, v10
	v_fma_f32 v146, 0xbf788fa5, v14, -v57
	v_add_f32_e32 v58, v58, v63
	s_delay_alu instid0(VALU_DEP_4) | instskip(SKIP_1) | instid1(VALU_DEP_4)
	v_fmamk_f32 v230, v10, 0x3f6f5d39, v229
	v_fmac_f32_e32 v91, 0xbf788fa5, v8
	v_dual_fmamk_f32 v212, v89, 0x3df6dbef, v4 :: v_dual_add_f32 v145, v52, v146
	v_fma_f32 v4, 0x3df6dbef, v89, -v4
	v_dual_add_f32 v73, v52, v73 :: v_dual_add_f32 v58, v59, v58
	s_delay_alu instid0(VALU_DEP_3)
	v_dual_add_f32 v3, v212, v2 :: v_dual_add_f32 v2, v5, v227
	v_fma_f32 v146, 0x3f62ad3f, v15, -v205
	v_fma_f32 v5, 0xbf3f9e67, v71, -v92
	v_fmac_f32_e32 v94, 0x3f116cb1, v9
	v_mul_f32_e32 v252, 0x3eedf032, v93
	v_fmamk_f32 v236, v22, 0x3f52af12, v234
	v_add_f32_e32 v145, v146, v145
	v_fma_f32 v146, 0xbf3f9e67, v7, -v206
	v_fmac_f32_e32 v206, 0xbf3f9e67, v7
	s_delay_alu instid0(VALU_DEP_4) | instskip(SKIP_1) | instid1(VALU_DEP_4)
	v_dual_mul_f32 v237, 0xbeb58ec6, v69 :: v_dual_add_f32 v236, v53, v236
	v_fmamk_f32 v235, v10, 0x3f29c268, v233
	v_add_f32_e32 v145, v146, v145
	v_mul_f32_e32 v207, 0x3f52af12, v87
	v_fmac_f32_e32 v234, 0xbf52af12, v22
	s_delay_alu instid0(VALU_DEP_2) | instskip(NEXT) | instid1(VALU_DEP_1)
	v_fma_f32 v146, 0x3f116cb1, v6, -v207
	v_add_f32_e32 v92, v146, v145
	v_fma_f32 v145, 0xbeb58ec6, v8, -v228
	v_fmac_f32_e32 v57, 0xbf788fa5, v14
	v_mul_f32_e32 v146, 0x3f7e222b, v93
	v_add_f32_e32 v2, v5, v2
	v_fma_f32 v5, 0x3f116cb1, v62, -v56
	s_delay_alu instid0(VALU_DEP_4) | instskip(NEXT) | instid1(VALU_DEP_4)
	v_dual_add_f32 v56, v145, v92 :: v_dual_add_f32 v57, v52, v57
	v_fma_f32 v92, 0x3df6dbef, v9, -v146
	v_fmac_f32_e32 v205, 0x3f62ad3f, v15
	s_delay_alu instid0(VALU_DEP_4) | instskip(SKIP_2) | instid1(VALU_DEP_4)
	v_add_f32_e32 v5, v5, v2
	v_fmac_f32_e32 v207, 0x3f116cb1, v6
	v_fmac_f32_e32 v228, 0xbeb58ec6, v8
	v_dual_add_f32 v2, v92, v56 :: v_dual_add_f32 v57, v205, v57
	s_delay_alu instid0(VALU_DEP_4) | instskip(SKIP_1) | instid1(VALU_DEP_3)
	v_add_f32_e32 v5, v95, v5
	v_fmac_f32_e32 v146, 0x3df6dbef, v9
	v_dual_add_f32 v57, v206, v57 :: v_dual_mul_f32 v206, 0xbf788fa5, v62
	v_add_f32_e32 v25, v25, v27
	v_add_f32_e32 v27, v74, v73
	s_delay_alu instid0(VALU_DEP_3) | instskip(SKIP_3) | instid1(VALU_DEP_4)
	v_add_f32_e32 v57, v207, v57
	v_mul_f32_e32 v207, 0xbf29c268, v81
	v_mul_f32_e32 v145, 0xbf3f9e67, v76
	v_add_f32_e32 v5, v4, v5
	v_dual_add_f32 v27, v55, v27 :: v_dual_add_f32 v4, v228, v57
	s_delay_alu instid0(VALU_DEP_4) | instskip(SKIP_2) | instid1(VALU_DEP_4)
	v_fmamk_f32 v212, v14, 0xbf3f9e67, v207
	v_mul_f32_e32 v227, 0x3f7e222b, v82
	v_fmamk_f32 v56, v22, 0x3f29c268, v145
	v_dual_fmamk_f32 v57, v12, 0xbe750f2a, v206 :: v_dual_add_f32 v4, v146, v4
	s_delay_alu instid0(VALU_DEP_4) | instskip(NEXT) | instid1(VALU_DEP_4)
	v_add_f32_e32 v146, v52, v212
	v_fmamk_f32 v212, v15, 0x3df6dbef, v227
	v_mul_f32_e32 v92, 0x3df6dbef, v69
	v_add_f32_e32 v56, v53, v56
	v_mul_f32_e32 v228, 0xbf52af12, v85
	v_add_f32_e32 v24, v24, v27
	v_fmac_f32_e32 v206, 0x3e750f2a, v12
	v_fmamk_f32 v95, v21, 0xbf7e222b, v92
	v_add_f32_e32 v25, v67, v25
	s_delay_alu instid0(VALU_DEP_4) | instskip(NEXT) | instid1(VALU_DEP_3)
	v_dual_mul_f32 v55, 0xbf7e222b, v85 :: v_dual_add_f32 v24, v66, v24
	v_dual_add_f32 v56, v95, v56 :: v_dual_mul_f32 v205, 0x3f116cb1, v71
	s_delay_alu instid0(VALU_DEP_3) | instskip(SKIP_1) | instid1(VALU_DEP_4)
	v_add_f32_e32 v25, v65, v25
	v_mul_f32_e32 v65, 0xbf6f5d39, v87
	v_dual_mul_f32 v253, 0xbeb58ec6, v62 :: v_dual_add_f32 v24, v78, v24
	s_delay_alu instid0(VALU_DEP_4) | instskip(NEXT) | instid1(VALU_DEP_3)
	v_fmamk_f32 v95, v13, 0x3f52af12, v205
	v_fmamk_f32 v66, v6, 0xbeb58ec6, v65
	s_delay_alu instid0(VALU_DEP_3) | instskip(NEXT) | instid1(VALU_DEP_3)
	v_add_f32_e32 v24, v79, v24
	v_add_f32_e32 v56, v95, v56
	v_mul_f32_e32 v95, 0x3f62ad3f, v80
	s_delay_alu instid0(VALU_DEP_3) | instskip(NEXT) | instid1(VALU_DEP_2)
	v_add_f32_e32 v17, v17, v24
	v_dual_add_f32 v56, v57, v56 :: v_dual_fmamk_f32 v57, v11, 0xbeedf032, v95
	s_delay_alu instid0(VALU_DEP_1) | instskip(SKIP_1) | instid1(VALU_DEP_1)
	v_add_f32_e32 v56, v57, v56
	v_fma_f32 v57, 0xbeb58ec6, v76, -v77
	v_add_f32_e32 v231, v53, v57
	v_dual_add_f32 v77, v212, v146 :: v_dual_fmamk_f32 v146, v7, 0x3f116cb1, v228
	v_mul_f32_e32 v212, 0x3e750f2a, v87
	v_fmac_f32_e32 v92, 0x3f7e222b, v21
	s_delay_alu instid0(VALU_DEP_3)
	v_add_f32_e32 v77, v146, v77
	v_dual_add_f32 v57, v230, v56 :: v_dual_add_f32 v56, v68, v231
	v_fma_f32 v68, 0x3f62ad3f, v71, -v70
	v_fmamk_f32 v146, v6, 0xbf788fa5, v212
	v_mul_f32_e32 v230, 0xbe750f2a, v82
	v_mul_f32_e32 v231, 0x3f6f5d39, v85
	v_mul_f32_e32 v82, 0xbf52af12, v82
	v_add_f32_e32 v56, v68, v56
	v_add_f32_e32 v70, v146, v77
	v_mul_f32_e32 v146, 0xbf6f5d39, v93
	s_delay_alu instid0(VALU_DEP_3) | instskip(NEXT) | instid1(VALU_DEP_1)
	v_add_f32_e32 v60, v60, v56
	v_add_f32_e32 v60, v61, v60
	s_delay_alu instid0(VALU_DEP_1) | instskip(NEXT) | instid1(VALU_DEP_1)
	v_dual_mul_f32 v232, 0x3eedf032, v90 :: v_dual_add_f32 v59, v83, v60
	v_fmamk_f32 v77, v8, 0x3f62ad3f, v232
	v_dual_mul_f32 v83, 0xbf7e222b, v81 :: v_dual_add_f32 v58, v91, v58
	s_delay_alu instid0(VALU_DEP_2) | instskip(SKIP_1) | instid1(VALU_DEP_3)
	v_dual_mul_f32 v91, 0x3f116cb1, v80 :: v_dual_add_f32 v68, v77, v70
	v_fmamk_f32 v70, v9, 0xbeb58ec6, v146
	v_dual_mul_f32 v77, 0x3df6dbef, v76 :: v_dual_add_f32 v58, v94, v58
	v_fmamk_f32 v94, v15, 0xbf788fa5, v230
	v_mul_f32_e32 v76, 0x3f62ad3f, v76
	s_delay_alu instid0(VALU_DEP_4) | instskip(NEXT) | instid1(VALU_DEP_4)
	v_add_f32_e32 v56, v70, v68
	v_fmamk_f32 v68, v22, 0x3f7e222b, v77
	v_mul_f32_e32 v70, 0xbf788fa5, v69
	s_delay_alu instid0(VALU_DEP_4) | instskip(NEXT) | instid1(VALU_DEP_3)
	v_fmamk_f32 v249, v22, 0x3eedf032, v76
	v_add_f32_e32 v61, v53, v68
	s_delay_alu instid0(VALU_DEP_3) | instskip(SKIP_3) | instid1(VALU_DEP_4)
	v_fmamk_f32 v63, v21, 0x3e750f2a, v70
	v_mul_f32_e32 v68, 0xbeb58ec6, v71
	v_mul_f32_e32 v71, 0x3df6dbef, v71
	v_dual_mul_f32 v250, 0x3f7e222b, v90 :: v_dual_add_f32 v249, v53, v249
	v_add_f32_e32 v61, v63, v61
	s_delay_alu instid0(VALU_DEP_4) | instskip(SKIP_1) | instid1(VALU_DEP_2)
	v_fmamk_f32 v63, v13, 0xbf6f5d39, v68
	v_fmac_f32_e32 v76, 0xbeedf032, v22
	v_dual_add_f32 v60, v63, v61 :: v_dual_fmamk_f32 v61, v12, 0xbeedf032, v84
	s_delay_alu instid0(VALU_DEP_1) | instskip(SKIP_1) | instid1(VALU_DEP_1)
	v_dual_fmamk_f32 v63, v14, 0x3df6dbef, v83 :: v_dual_add_f32 v60, v61, v60
	v_fmamk_f32 v61, v11, 0x3f52af12, v91
	v_dual_add_f32 v63, v52, v63 :: v_dual_add_f32 v60, v61, v60
	s_delay_alu instid0(VALU_DEP_1) | instskip(SKIP_4) | instid1(VALU_DEP_4)
	v_add_f32_e32 v61, v94, v63
	v_fmamk_f32 v63, v7, 0xbeb58ec6, v231
	v_mul_f32_e32 v94, 0x3eedf032, v87
	v_fmac_f32_e32 v70, 0xbe750f2a, v21
	v_fmac_f32_e32 v68, 0x3f6f5d39, v13
	v_add_f32_e32 v61, v63, v61
	s_delay_alu instid0(VALU_DEP_4) | instskip(SKIP_3) | instid1(VALU_DEP_4)
	v_fmamk_f32 v63, v6, 0x3f62ad3f, v94
	v_dual_fmac_f32 v95, 0x3eedf032, v11 :: v_dual_fmac_f32 v84, 0x3eedf032, v12
	v_fmac_f32_e32 v205, 0xbf52af12, v13
	v_mul_f32_e32 v67, 0xbf788fa5, v89
	v_add_f32_e32 v63, v63, v61
	v_add_f32_e32 v61, v235, v60
	s_delay_alu instid0(VALU_DEP_2)
	v_add_f32_e32 v63, v241, v63
	v_fmamk_f32 v235, v13, 0x3e750f2a, v240
	v_fmamk_f32 v239, v21, 0x3f6f5d39, v237
	v_mul_f32_e32 v241, 0xbf52af12, v81
	v_mul_f32_e32 v81, 0xbeedf032, v81
	v_fmac_f32_e32 v237, 0xbf6f5d39, v21
	v_add_f32_e32 v17, v19, v17
	v_dual_add_f32 v60, v239, v236 :: v_dual_mul_f32 v239, 0xbf29c268, v93
	v_mul_f32_e32 v236, 0xbf3f9e67, v62
	v_fma_f32 v19, 0xbf3f9e67, v14, -v207
	s_delay_alu instid0(VALU_DEP_3) | instskip(NEXT) | instid1(VALU_DEP_3)
	v_dual_add_f32 v60, v235, v60 :: v_dual_fmamk_f32 v243, v9, 0xbf3f9e67, v239
	v_fmamk_f32 v235, v12, 0xbf29c268, v236
	v_fmac_f32_e32 v236, 0x3f29c268, v12
	v_fmac_f32_e32 v77, 0xbf7e222b, v22
	s_delay_alu instid0(VALU_DEP_3)
	v_add_f32_e32 v235, v235, v60
	v_mul_f32_e32 v242, 0x3df6dbef, v80
	v_add_f32_e32 v60, v243, v63
	v_fmamk_f32 v243, v15, 0xbeb58ec6, v245
	v_fmamk_f32 v244, v14, 0x3f116cb1, v241
	v_mul_f32_e32 v80, 0xbf3f9e67, v80
	v_dual_fmamk_f32 v246, v11, 0xbf7e222b, v242 :: v_dual_add_f32 v19, v52, v19
	s_delay_alu instid0(VALU_DEP_3) | instskip(NEXT) | instid1(VALU_DEP_3)
	v_dual_fmac_f32 v240, 0xbe750f2a, v13 :: v_dual_add_f32 v63, v52, v244
	v_fmamk_f32 v75, v11, 0x3f29c268, v80
	s_delay_alu instid0(VALU_DEP_3) | instskip(SKIP_4) | instid1(VALU_DEP_2)
	v_add_f32_e32 v235, v246, v235
	v_fmac_f32_e32 v91, 0xbf52af12, v11
	v_fmac_f32_e32 v242, 0x3f7e222b, v11
	v_dual_add_f32 v63, v243, v63 :: v_dual_mul_f32 v244, 0xbe750f2a, v85
	v_dual_add_f32 v85, v88, v25 :: v_dual_fmac_f32 v80, 0xbf29c268, v11
	v_fmamk_f32 v243, v7, 0xbf788fa5, v244
	s_delay_alu instid0(VALU_DEP_1) | instskip(SKIP_1) | instid1(VALU_DEP_1)
	v_add_f32_e32 v63, v243, v63
	v_fmamk_f32 v243, v6, 0xbf3f9e67, v247
	v_dual_mul_f32 v246, 0x3f62ad3f, v89 :: v_dual_add_f32 v63, v243, v63
	v_fmamk_f32 v243, v8, 0x3df6dbef, v250
	s_delay_alu instid0(VALU_DEP_1) | instskip(NEXT) | instid1(VALU_DEP_1)
	v_dual_add_f32 v62, v243, v63 :: v_dual_fmamk_f32 v243, v9, 0x3f62ad3f, v252
	v_dual_add_f32 v62, v243, v62 :: v_dual_fmamk_f32 v243, v14, 0x3f62ad3f, v81
	s_delay_alu instid0(VALU_DEP_1) | instskip(NEXT) | instid1(VALU_DEP_1)
	v_dual_add_f32 v74, v52, v243 :: v_dual_mul_f32 v69, 0x3f116cb1, v69
	v_fmamk_f32 v251, v21, 0x3f52af12, v69
	v_fmamk_f32 v248, v10, 0xbeedf032, v246
	s_delay_alu instid0(VALU_DEP_2) | instskip(SKIP_1) | instid1(VALU_DEP_3)
	v_dual_fmac_f32 v246, 0x3eedf032, v10 :: v_dual_add_f32 v249, v251, v249
	v_fmamk_f32 v251, v13, 0x3f7e222b, v71
	v_add_f32_e32 v63, v248, v235
	v_fmamk_f32 v248, v12, 0x3f6f5d39, v253
	v_fmac_f32_e32 v253, 0xbf6f5d39, v12
	s_delay_alu instid0(VALU_DEP_4) | instskip(NEXT) | instid1(VALU_DEP_1)
	v_add_f32_e32 v235, v251, v249
	v_add_f32_e32 v235, v248, v235
	s_delay_alu instid0(VALU_DEP_1) | instskip(SKIP_1) | instid1(VALU_DEP_1)
	v_add_f32_e32 v73, v75, v235
	v_fmamk_f32 v75, v15, 0x3f116cb1, v82
	v_dual_add_f32 v74, v75, v74 :: v_dual_fmamk_f32 v75, v10, 0x3e750f2a, v67
	s_delay_alu instid0(VALU_DEP_1) | instskip(SKIP_1) | instid1(VALU_DEP_1)
	v_add_f32_e32 v25, v75, v73
	v_add_f32_e32 v73, v86, v85
	;; [unrolled: 1-line block ×3, first 2 shown]
	s_delay_alu instid0(VALU_DEP_1) | instskip(NEXT) | instid1(VALU_DEP_1)
	v_add_f32_e32 v16, v16, v64
	v_add_f32_e32 v16, v18, v16
	s_delay_alu instid0(VALU_DEP_1) | instskip(SKIP_2) | instid1(VALU_DEP_3)
	v_add_f32_e32 v16, v20, v16
	v_add_f32_e32 v20, v26, v17
	v_fma_f32 v26, 0x3df6dbef, v15, -v227
	v_add_f32_e32 v17, v54, v16
	s_delay_alu instid0(VALU_DEP_3) | instskip(NEXT) | instid1(VALU_DEP_3)
	v_add_f32_e32 v16, v23, v20
	v_add_f32_e32 v20, v26, v19
	v_fma_f32 v23, 0x3f116cb1, v7, -v228
	v_dual_fmamk_f32 v27, v7, 0x3df6dbef, v55 :: v_dual_add_f32 v26, v53, v77
	v_fma_f32 v54, 0x3f62ad3f, v6, -v94
	v_add_f32_e32 v16, v72, v16
	s_delay_alu instid0(VALU_DEP_4) | instskip(SKIP_3) | instid1(VALU_DEP_3)
	v_add_f32_e32 v20, v23, v20
	v_fma_f32 v23, 0xbf788fa5, v6, -v212
	v_add_f32_e32 v27, v27, v74
	v_add_f32_e32 v26, v70, v26
	;; [unrolled: 1-line block ×3, first 2 shown]
	v_fma_f32 v23, 0x3f62ad3f, v8, -v232
	v_fmac_f32_e32 v145, 0xbf29c268, v22
	v_dual_add_f32 v27, v66, v27 :: v_dual_mul_f32 v66, 0xbf29c268, v90
	v_add_f32_e32 v26, v68, v26
	s_delay_alu instid0(VALU_DEP_3) | instskip(SKIP_1) | instid1(VALU_DEP_4)
	v_dual_add_f32 v20, v23, v20 :: v_dual_add_f32 v73, v53, v145
	v_fma_f32 v23, 0xbeb58ec6, v9, -v146
	v_fmamk_f32 v74, v8, 0xbf3f9e67, v66
	v_mul_f32_e32 v75, 0xbe750f2a, v93
	v_fma_f32 v68, 0xbeb58ec6, v15, -v245
	s_delay_alu instid0(VALU_DEP_3) | instskip(NEXT) | instid1(VALU_DEP_3)
	v_dual_add_f32 v24, v92, v73 :: v_dual_add_f32 v27, v74, v27
	v_fmamk_f32 v64, v9, 0xbf788fa5, v75
	s_delay_alu instid0(VALU_DEP_2) | instskip(NEXT) | instid1(VALU_DEP_2)
	v_add_f32_e32 v18, v205, v24
	v_add_f32_e32 v24, v64, v27
	v_fma_f32 v64, 0xbf3f9e67, v9, -v239
	s_delay_alu instid0(VALU_DEP_3) | instskip(SKIP_3) | instid1(VALU_DEP_4)
	v_add_f32_e32 v18, v206, v18
	v_fmac_f32_e32 v229, 0xbf6f5d39, v10
	v_fma_f32 v27, 0xbf788fa5, v15, -v230
	v_fma_f32 v15, 0x3f116cb1, v15, -v82
	v_add_f32_e32 v18, v95, v18
	v_fmac_f32_e32 v67, 0xbe750f2a, v10
	s_delay_alu instid0(VALU_DEP_2) | instskip(SKIP_1) | instid1(VALU_DEP_1)
	v_add_f32_e32 v19, v229, v18
	v_fma_f32 v18, 0x3df6dbef, v14, -v83
	v_add_f32_e32 v18, v52, v18
	s_delay_alu instid0(VALU_DEP_1) | instskip(SKIP_1) | instid1(VALU_DEP_1)
	v_add_f32_e32 v18, v27, v18
	v_fma_f32 v27, 0xbeb58ec6, v7, -v231
	v_add_f32_e32 v27, v27, v18
	v_add_f32_e32 v18, v23, v20
	;; [unrolled: 1-line block ×3, first 2 shown]
	v_fma_f32 v26, 0x3f116cb1, v8, -v238
	s_delay_alu instid0(VALU_DEP_4) | instskip(SKIP_3) | instid1(VALU_DEP_3)
	v_add_f32_e32 v23, v54, v27
	v_fma_f32 v54, 0x3f116cb1, v14, -v241
	v_fma_f32 v14, 0x3f62ad3f, v14, -v81
	v_dual_add_f32 v27, v53, v234 :: v_dual_add_f32 v20, v91, v20
	v_add_f32_e32 v54, v52, v54
	s_delay_alu instid0(VALU_DEP_3) | instskip(NEXT) | instid1(VALU_DEP_3)
	v_dual_add_f32 v14, v52, v14 :: v_dual_add_f32 v23, v26, v23
	v_add_f32_e32 v26, v237, v27
	s_delay_alu instid0(VALU_DEP_2) | instskip(SKIP_2) | instid1(VALU_DEP_1)
	v_add_f32_e32 v14, v15, v14
	v_fma_f32 v15, 0x3df6dbef, v8, -v250
	v_fmac_f32_e32 v233, 0xbf29c268, v10
	v_dual_add_f32 v27, v233, v20 :: v_dual_add_f32 v20, v240, v26
	v_add_f32_e32 v26, v64, v23
	v_add_f32_e32 v23, v68, v54
	v_fma_f32 v54, 0xbf788fa5, v7, -v244
	v_fma_f32 v7, 0x3df6dbef, v7, -v55
	v_add_f32_e32 v20, v236, v20
	s_delay_alu instid0(VALU_DEP_2)
	v_dual_add_f32 v22, v54, v23 :: v_dual_add_f32 v7, v7, v14
	v_fmac_f32_e32 v69, 0xbf52af12, v21
	v_fma_f32 v21, 0xbf3f9e67, v6, -v247
	v_fma_f32 v6, 0xbeb58ec6, v6, -v65
	v_add_f32_e32 v23, v53, v76
	v_mul_u32_u24_e32 v14, 52, v211
	v_add_f32_e32 v20, v242, v20
	s_delay_alu instid0(VALU_DEP_4) | instskip(SKIP_4) | instid1(VALU_DEP_4)
	v_add_f32_e32 v6, v6, v7
	v_fma_f32 v7, 0xbf3f9e67, v8, -v66
	v_fma_f32 v8, 0x3f62ad3f, v9, -v252
	v_fmac_f32_e32 v71, 0xbf7e222b, v13
	v_add_f32_e32 v13, v21, v22
	v_dual_add_f32 v23, v69, v23 :: v_dual_add_f32 v10, v7, v6
	v_or_b32_e32 v11, v14, v210
	v_fma_f32 v14, 0xbf788fa5, v9, -v75
	s_delay_alu instid0(VALU_DEP_4) | instskip(NEXT) | instid1(VALU_DEP_1)
	v_dual_add_f32 v12, v15, v13 :: v_dual_add_f32 v7, v246, v20
	v_dual_add_f32 v6, v8, v12 :: v_dual_lshlrev_b32 v11, 3, v11
	s_delay_alu instid0(VALU_DEP_3) | instskip(NEXT) | instid1(VALU_DEP_1)
	v_dual_add_f32 v21, v71, v23 :: v_dual_add_f32 v8, v14, v10
	v_add_f32_e32 v13, v253, v21
	s_delay_alu instid0(VALU_DEP_1) | instskip(NEXT) | instid1(VALU_DEP_1)
	v_add_f32_e32 v13, v80, v13
	v_add_f32_e32 v9, v67, v13
	ds_store_2addr_b64 v11, v[16:17], v[24:25] offset1:4
	ds_store_2addr_b64 v11, v[62:63], v[60:61] offset0:8 offset1:12
	ds_store_2addr_b64 v11, v[58:59], v[56:57] offset0:16 offset1:20
	;; [unrolled: 1-line block ×5, first 2 shown]
	ds_store_b64 v11, v[8:9] offset:384
.LBB0_9:
	s_wait_alu 0xfffe
	s_or_b32 exec_lo, exec_lo, s2
	v_add_nc_u32_e32 v0, 0x1000, v209
	v_add_nc_u32_e32 v5, 0x1400, v209
	global_wb scope:SCOPE_SE
	s_wait_dscnt 0x0
	s_barrier_signal -1
	s_barrier_wait -1
	global_inv scope:SCOPE_SE
	ds_load_2addr_b64 v[6:9], v0 offset0:112 offset1:164
	ds_load_2addr_b64 v[10:13], v5 offset0:88 offset1:140
	ds_load_2addr_b64 v[14:17], v209 offset1:52
	v_add_nc_u32_e32 v4, 0x400, v209
	v_add_nc_u32_e32 v3, 0x1800, v209
	;; [unrolled: 1-line block ×3, first 2 shown]
	ds_load_2addr_b64 v[18:21], v209 offset0:104 offset1:156
	s_mov_b32 s2, 0x1a41a41a
	s_mov_b32 s3, 0x3f4a41a4
	s_wait_dscnt 0x2
	v_dual_mul_f32 v26, v150, v7 :: v_dual_mul_f32 v83, v168, v10
	v_add_nc_u32_e32 v1, 0x2000, v209
	v_mul_f32_e32 v27, v150, v6
	s_delay_alu instid0(VALU_DEP_3)
	v_dual_mul_f32 v81, v150, v8 :: v_dual_fmac_f32 v26, v149, v6
	v_mul_f32_e32 v82, v168, v11
	ds_load_2addr_b64 v[22:25], v4 offset0:80 offset1:132
	ds_load_2addr_b64 v[52:55], v3 offset0:64 offset1:116
	;; [unrolled: 1-line block ×8, first 2 shown]
	v_fma_f32 v7, v149, v7, -v27
	v_mul_f32_e32 v27, v166, v13
	global_wb scope:SCOPE_SE
	s_wait_dscnt 0x0
	v_fmac_f32_e32 v82, v167, v10
	v_mul_f32_e32 v80, v150, v9
	v_fma_f32 v9, v149, v9, -v81
	v_fmac_f32_e32 v27, v165, v12
	v_fma_f32 v81, v167, v11, -v83
	s_barrier_signal -1
	v_fmac_f32_e32 v80, v149, v8
	s_barrier_wait -1
	global_inv scope:SCOPE_SE
	v_sub_f32_e32 v7, v15, v7
	v_mul_f32_e32 v83, v164, v53
	v_dual_mul_f32 v85, v162, v55 :: v_dual_mul_f32 v86, v160, v61
	v_mul_f32_e32 v6, v166, v12
	s_delay_alu instid0(VALU_DEP_3) | instskip(NEXT) | instid1(VALU_DEP_3)
	v_dual_mul_f32 v8, v162, v54 :: v_dual_fmac_f32 v83, v163, v52
	v_fmac_f32_e32 v85, v161, v54
	v_mul_f32_e32 v89, v148, v79
	s_delay_alu instid0(VALU_DEP_4) | instskip(SKIP_2) | instid1(VALU_DEP_4)
	v_fma_f32 v84, v165, v13, -v6
	v_mul_f32_e32 v6, v164, v52
	v_dual_fmac_f32 v86, v159, v60 :: v_dual_mul_f32 v87, v156, v69
	v_fmac_f32_e32 v89, v147, v78
	v_sub_f32_e32 v9, v17, v9
	s_delay_alu instid0(VALU_DEP_4) | instskip(SKIP_4) | instid1(VALU_DEP_4)
	v_fma_f32 v52, v163, v53, -v6
	v_mul_f32_e32 v6, v160, v60
	v_fma_f32 v53, v161, v55, -v8
	v_mul_f32_e32 v8, v158, v62
	v_dual_mul_f32 v60, v158, v63 :: v_dual_fmac_f32 v87, v155, v68
	v_fma_f32 v55, v159, v61, -v6
	v_mul_f32_e32 v6, v156, v68
	s_delay_alu instid0(VALU_DEP_4)
	v_fma_f32 v61, v157, v63, -v8
	v_mul_f32_e32 v8, v152, v76
	v_fma_f32 v11, v15, 2.0, -v7
	v_sub_f32_e32 v15, v19, v81
	v_fma_f32 v63, v155, v69, -v6
	v_dual_sub_f32 v61, v59, v61 :: v_dual_mul_f32 v6, v154, v70
	v_dual_sub_f32 v53, v25, v53 :: v_dual_mul_f32 v10, v148, v78
	s_delay_alu instid0(VALU_DEP_3) | instskip(SKIP_1) | instid1(VALU_DEP_4)
	v_sub_f32_e32 v63, v65, v63
	v_mul_f32_e32 v68, v154, v71
	v_fma_f32 v69, v153, v71, -v6
	v_fma_f32 v71, v151, v77, -v8
	v_sub_f32_e32 v6, v14, v26
	v_dual_mul_f32 v88, v152, v77 :: v_dual_sub_f32 v55, v57, v55
	v_fma_f32 v77, v147, v79, -v10
	v_sub_f32_e32 v8, v16, v80
	v_fmac_f32_e32 v60, v157, v62
	v_sub_f32_e32 v71, v73, v71
	v_fma_f32 v10, v14, 2.0, -v6
	v_sub_f32_e32 v14, v18, v82
	v_fma_f32 v13, v17, 2.0, -v9
	v_sub_f32_e32 v17, v21, v84
	v_sub_f32_e32 v77, v75, v77
	v_fma_f32 v12, v16, 2.0, -v8
	v_sub_f32_e32 v16, v20, v27
	v_dual_fmac_f32 v68, v153, v70 :: v_dual_sub_f32 v69, v67, v69
	v_dual_sub_f32 v26, v22, v83 :: v_dual_sub_f32 v27, v23, v52
	v_fmac_f32_e32 v88, v151, v76
	v_sub_f32_e32 v52, v24, v85
	v_sub_f32_e32 v54, v56, v86
	v_fma_f32 v19, v19, 2.0, -v15
	v_sub_f32_e32 v60, v58, v60
	ds_store_2addr_b64 v209, v[10:11], v[6:7] offset1:52
	ds_store_2addr_b64 v209, v[12:13], v[8:9] offset0:104 offset1:156
	v_add_nc_u32_e32 v6, 0x400, v222
	v_add_nc_u32_e32 v7, 0x800, v221
	v_fma_f32 v18, v18, 2.0, -v14
	v_fma_f32 v20, v20, 2.0, -v16
	;; [unrolled: 1-line block ×3, first 2 shown]
	v_sub_f32_e32 v62, v64, v87
	v_fma_f32 v22, v22, 2.0, -v26
	v_fma_f32 v23, v23, 2.0, -v27
	v_sub_f32_e32 v68, v66, v68
	v_add_nc_u32_e32 v8, 0x800, v220
	v_fma_f32 v25, v25, 2.0, -v53
	v_dual_sub_f32 v70, v72, v88 :: v_dual_add_nc_u32 v9, 0x1000, v219
	v_fma_f32 v24, v24, 2.0, -v52
	v_fma_f32 v56, v56, 2.0, -v54
	;; [unrolled: 1-line block ×3, first 2 shown]
	v_sub_f32_e32 v76, v74, v89
	v_add_nc_u32_e32 v10, 0x1000, v218
	v_fma_f32 v58, v58, 2.0, -v60
	v_fma_f32 v59, v59, 2.0, -v61
	ds_store_2addr_b64 v6, v[18:19], v[14:15] offset0:80 offset1:132
	ds_store_2addr_b64 v7, v[20:21], v[16:17] offset0:56 offset1:108
	;; [unrolled: 1-line block ×5, first 2 shown]
	v_add_nc_u32_e32 v6, 0x1400, v217
	v_fma_f32 v64, v64, 2.0, -v62
	v_fma_f32 v65, v65, 2.0, -v63
	v_add_nc_u32_e32 v7, 0x1800, v216
	v_fma_f32 v66, v66, 2.0, -v68
	v_fma_f32 v67, v67, 2.0, -v69
	;; [unrolled: 3-line block ×4, first 2 shown]
	v_add_nc_u32_e32 v10, 0x2000, v213
	ds_store_2addr_b64 v6, v[58:59], v[60:61] offset0:88 offset1:140
	ds_store_2addr_b64 v7, v[64:65], v[62:63] offset0:64 offset1:116
	ds_store_2addr_b64 v8, v[66:67], v[68:69] offset0:168 offset1:220
	ds_store_2addr_b64 v9, v[72:73], v[70:71] offset0:16 offset1:68
	ds_store_2addr_b64 v10, v[74:75], v[76:77] offset0:120 offset1:172
	global_wb scope:SCOPE_SE
	s_wait_dscnt 0x0
	s_barrier_signal -1
	s_barrier_wait -1
	global_inv scope:SCOPE_SE
	ds_load_2addr_b64 v[6:9], v2 offset0:160 offset1:212
	ds_load_2addr_b64 v[10:13], v3 offset0:64 offset1:116
	ds_load_2addr_b64 v[14:17], v209 offset1:52
	ds_load_2addr_b64 v[18:21], v209 offset0:104 offset1:156
	ds_load_2addr_b64 v[22:25], v0 offset0:8 offset1:60
	;; [unrolled: 1-line block ×9, first 2 shown]
	global_wb scope:SCOPE_SE
	s_wait_dscnt 0x0
	s_barrier_signal -1
	s_barrier_wait -1
	global_inv scope:SCOPE_SE
	v_mul_f32_e32 v26, v29, v7
	v_dual_mul_f32 v27, v29, v6 :: v_dual_mul_f32 v80, v31, v11
	v_mul_f32_e32 v81, v35, v13
	s_delay_alu instid0(VALU_DEP_3) | instskip(SKIP_1) | instid1(VALU_DEP_4)
	v_dual_mul_f32 v83, v29, v23 :: v_dual_fmac_f32 v26, v28, v6
	v_mul_f32_e32 v6, v31, v10
	v_fma_f32 v7, v28, v7, -v27
	v_dual_mul_f32 v27, v33, v9 :: v_dual_fmac_f32 v80, v30, v10
	v_mul_f32_e32 v10, v33, v8
	s_delay_alu instid0(VALU_DEP_4) | instskip(SKIP_1) | instid1(VALU_DEP_4)
	v_fma_f32 v11, v30, v11, -v6
	v_mul_f32_e32 v6, v35, v12
	v_dual_fmac_f32 v27, v32, v8 :: v_dual_mul_f32 v8, v29, v22
	v_mul_f32_e32 v29, v31, v53
	v_fmac_f32_e32 v83, v28, v22
	s_delay_alu instid0(VALU_DEP_4) | instskip(SKIP_4) | instid1(VALU_DEP_4)
	v_fma_f32 v13, v34, v13, -v6
	v_mul_f32_e32 v6, v31, v52
	v_fma_f32 v23, v28, v23, -v8
	v_dual_mul_f32 v28, v33, v25 :: v_dual_fmac_f32 v29, v30, v52
	v_fma_f32 v82, v32, v9, -v10
	v_fma_f32 v30, v30, v53, -v6
	v_dual_mul_f32 v53, v39, v79 :: v_dual_mul_f32 v8, v33, v24
	s_delay_alu instid0(VALU_DEP_4) | instskip(SKIP_1) | instid1(VALU_DEP_3)
	v_dual_mul_f32 v31, v35, v55 :: v_dual_fmac_f32 v28, v32, v24
	v_dual_mul_f32 v6, v35, v54 :: v_dual_mul_f32 v33, v49, v61
	v_fmac_f32_e32 v53, v38, v78
	s_delay_alu instid0(VALU_DEP_4)
	v_fma_f32 v32, v32, v25, -v8
	v_mul_f32_e32 v8, v49, v60
	v_fmac_f32_e32 v81, v34, v12
	v_fmac_f32_e32 v31, v34, v54
	v_fma_f32 v34, v34, v55, -v6
	v_mul_f32_e32 v35, v51, v65
	v_fmac_f32_e32 v33, v48, v60
	v_mul_f32_e32 v6, v51, v64
	v_fma_f32 v48, v48, v61, -v8
	v_mul_f32_e32 v49, v45, v63
	v_dual_mul_f32 v8, v45, v62 :: v_dual_fmac_f32 v35, v50, v64
	s_delay_alu instid0(VALU_DEP_4) | instskip(NEXT) | instid1(VALU_DEP_3)
	v_fma_f32 v45, v50, v65, -v6
	v_dual_mul_f32 v50, v47, v67 :: v_dual_fmac_f32 v49, v44, v62
	s_delay_alu instid0(VALU_DEP_3)
	v_fma_f32 v44, v44, v63, -v8
	v_mul_f32_e32 v8, v41, v72
	v_sub_f32_e32 v24, v27, v81
	v_dual_mul_f32 v6, v47, v66 :: v_dual_mul_f32 v47, v41, v73
	v_fmac_f32_e32 v50, v46, v66
	v_add_f32_e32 v9, v14, v26
	v_add_f32_e32 v25, v18, v83
	s_delay_alu instid0(VALU_DEP_4)
	v_fma_f32 v41, v46, v67, -v6
	v_mul_f32_e32 v46, v43, v77
	v_mul_f32_e32 v6, v43, v76
	v_fma_f32 v43, v40, v73, -v8
	v_mul_f32_e32 v8, v37, v74
	v_add_f32_e32 v10, v7, v11
	v_sub_f32_e32 v12, v7, v11
	v_fma_f32 v52, v42, v77, -v6
	v_mul_f32_e32 v6, v39, v78
	v_fma_f32 v54, v36, v75, -v8
	v_add_f32_e32 v8, v26, v80
	v_dual_sub_f32 v22, v82, v13 :: v_dual_mul_f32 v51, v37, v75
	s_delay_alu instid0(VALU_DEP_4) | instskip(SKIP_1) | instid1(VALU_DEP_4)
	v_fma_f32 v55, v38, v79, -v6
	v_add_f32_e32 v37, v57, v48
	v_fma_f32 v6, -0.5, v8, v14
	v_dual_add_f32 v8, v9, v80 :: v_dual_add_f32 v9, v15, v7
	v_fma_f32 v7, -0.5, v10, v15
	v_add_f32_e32 v15, v16, v27
	s_delay_alu instid0(VALU_DEP_4)
	v_fmamk_f32 v10, v12, 0xbf5db3d7, v6
	v_fmac_f32_e32 v6, 0x3f5db3d7, v12
	v_add_f32_e32 v12, v27, v81
	v_dual_sub_f32 v27, v83, v29 :: v_dual_sub_f32 v14, v26, v80
	v_add_f32_e32 v9, v9, v11
	v_sub_f32_e32 v38, v33, v35
	s_delay_alu instid0(VALU_DEP_4) | instskip(NEXT) | instid1(VALU_DEP_4)
	v_fma_f32 v16, -0.5, v12, v16
	v_dual_add_f32 v12, v15, v81 :: v_dual_fmamk_f32 v11, v14, 0x3f5db3d7, v7
	v_dual_fmac_f32 v7, 0xbf5db3d7, v14 :: v_dual_add_f32 v14, v82, v13
	v_add_f32_e32 v15, v17, v82
	v_dual_sub_f32 v26, v23, v30 :: v_dual_sub_f32 v39, v44, v41
	s_delay_alu instid0(VALU_DEP_3)
	v_dual_fmac_f32 v46, v42, v76 :: v_dual_fmac_f32 v17, -0.5, v14
	v_fmamk_f32 v14, v22, 0xbf5db3d7, v16
	v_fmac_f32_e32 v16, 0x3f5db3d7, v22
	v_add_f32_e32 v22, v83, v29
	v_add_f32_e32 v13, v15, v13
	v_fmamk_f32 v15, v24, 0x3f5db3d7, v17
	v_dual_fmac_f32 v17, 0xbf5db3d7, v24 :: v_dual_add_f32 v24, v23, v30
	s_delay_alu instid0(VALU_DEP_4) | instskip(SKIP_2) | instid1(VALU_DEP_4)
	v_fma_f32 v18, -0.5, v22, v18
	v_add_f32_e32 v23, v19, v23
	v_dual_fmac_f32 v47, v40, v72 :: v_dual_add_f32 v22, v25, v29
	v_fma_f32 v19, -0.5, v24, v19
	s_delay_alu instid0(VALU_DEP_4) | instskip(SKIP_2) | instid1(VALU_DEP_4)
	v_fmamk_f32 v24, v26, 0xbf5db3d7, v18
	v_fmac_f32_e32 v18, 0x3f5db3d7, v26
	v_dual_add_f32 v26, v28, v31 :: v_dual_add_f32 v23, v23, v30
	v_fmamk_f32 v25, v27, 0x3f5db3d7, v19
	v_add_f32_e32 v29, v20, v28
	v_fmac_f32_e32 v19, 0xbf5db3d7, v27
	v_add_f32_e32 v27, v32, v34
	v_fma_f32 v20, -0.5, v26, v20
	v_sub_f32_e32 v40, v49, v50
	v_sub_f32_e32 v30, v32, v34
	v_add_f32_e32 v26, v29, v31
	v_add_f32_e32 v29, v21, v32
	v_fmac_f32_e32 v21, -0.5, v27
	s_delay_alu instid0(VALU_DEP_4) | instskip(SKIP_3) | instid1(VALU_DEP_4)
	v_dual_sub_f32 v31, v28, v31 :: v_dual_fmamk_f32 v28, v30, 0xbf5db3d7, v20
	v_fmac_f32_e32 v20, 0x3f5db3d7, v30
	v_dual_add_f32 v30, v33, v35 :: v_dual_fmac_f32 v51, v36, v74
	v_add_f32_e32 v27, v29, v34
	v_fmamk_f32 v29, v31, 0x3f5db3d7, v21
	v_fmac_f32_e32 v21, 0xbf5db3d7, v31
	v_add_f32_e32 v31, v48, v45
	v_fma_f32 v30, -0.5, v30, v56
	v_sub_f32_e32 v36, v48, v45
	v_add_f32_e32 v32, v56, v33
	v_add_f32_e32 v33, v37, v45
	v_fma_f32 v31, -0.5, v31, v57
	s_delay_alu instid0(VALU_DEP_4) | instskip(SKIP_2) | instid1(VALU_DEP_4)
	v_dual_add_f32 v37, v58, v49 :: v_dual_fmamk_f32 v34, v36, 0xbf5db3d7, v30
	v_fmac_f32_e32 v30, 0x3f5db3d7, v36
	v_add_f32_e32 v36, v49, v50
	v_dual_add_f32 v32, v32, v35 :: v_dual_fmamk_f32 v35, v38, 0x3f5db3d7, v31
	v_dual_fmac_f32 v31, 0xbf5db3d7, v38 :: v_dual_add_f32 v38, v44, v41
	s_delay_alu instid0(VALU_DEP_3) | instskip(SKIP_1) | instid1(VALU_DEP_3)
	v_fma_f32 v58, -0.5, v36, v58
	v_dual_add_f32 v36, v37, v50 :: v_dual_add_f32 v37, v59, v44
	v_dual_add_f32 v44, v43, v52 :: v_dual_fmac_f32 v59, -0.5, v38
	v_sub_f32_e32 v50, v51, v53
	s_delay_alu instid0(VALU_DEP_3)
	v_dual_add_f32 v42, v68, v47 :: v_dual_add_f32 v37, v37, v41
	v_add_f32_e32 v41, v47, v46
	v_sub_f32_e32 v45, v43, v52
	v_add_f32_e32 v49, v71, v54
	v_fmamk_f32 v38, v39, 0xbf5db3d7, v58
	v_dual_fmac_f32 v58, 0x3f5db3d7, v39 :: v_dual_fmamk_f32 v39, v40, 0x3f5db3d7, v59
	v_fmac_f32_e32 v59, 0xbf5db3d7, v40
	v_fma_f32 v40, -0.5, v41, v68
	v_add_f32_e32 v42, v42, v46
	v_fma_f32 v41, -0.5, v44, v69
	v_sub_f32_e32 v46, v47, v46
	s_delay_alu instid0(VALU_DEP_4) | instskip(SKIP_1) | instid1(VALU_DEP_3)
	v_dual_add_f32 v47, v51, v53 :: v_dual_fmamk_f32 v44, v45, 0xbf5db3d7, v40
	v_dual_fmac_f32 v40, 0x3f5db3d7, v45 :: v_dual_add_f32 v43, v69, v43
	v_fmamk_f32 v45, v46, 0x3f5db3d7, v41
	v_dual_fmac_f32 v41, 0xbf5db3d7, v46 :: v_dual_add_f32 v46, v54, v55
	v_add_f32_e32 v48, v70, v51
	v_fma_f32 v70, -0.5, v47, v70
	v_dual_sub_f32 v47, v54, v55 :: v_dual_add_nc_u32 v54, 0xc00, v209
	s_delay_alu instid0(VALU_DEP_4)
	v_fmac_f32_e32 v71, -0.5, v46
	ds_store_b64 v209, v[10:11] offset:832
	ds_store_b64 v209, v[6:7] offset:1664
	ds_store_2addr_b64 v209, v[8:9], v[12:13] offset1:52
	ds_store_2addr_b64 v2, v[16:17], v[22:23] offset0:4 offset1:56
	ds_store_2addr_b64 v2, v[26:27], v[24:25] offset0:108 offset1:160
	;; [unrolled: 1-line block ×3, first 2 shown]
	v_add_nc_u32_e32 v7, 0x1000, v224
	v_dual_add_f32 v43, v43, v52 :: v_dual_add_nc_u32 v6, 0x1000, v223
	v_add_nc_u32_e32 v8, 0x1c00, v225
	v_add_f32_e32 v46, v48, v53
	v_fmamk_f32 v48, v47, 0xbf5db3d7, v70
	v_fmac_f32_e32 v70, 0x3f5db3d7, v47
	v_add_f32_e32 v47, v49, v55
	v_fmamk_f32 v49, v50, 0x3f5db3d7, v71
	ds_store_b64 v209, v[14:15] offset:1248
	ds_store_b64 v209, v[20:21] offset:4576
	ds_store_2addr_b64 v6, v[32:33], v[34:35] offset0:112 offset1:216
	v_add_nc_u32_e32 v6, 0x1c00, v226
	v_fmac_f32_e32 v71, 0xbf5db3d7, v50
	ds_store_2addr_b64 v7, v[36:37], v[38:39] offset0:112 offset1:216
	ds_store_2addr_b64 v8, v[42:43], v[44:45] offset0:40 offset1:144
	ds_store_b64 v223, v[30:31] offset:6656
	ds_store_b64 v225, v[40:41] offset:9152
	ds_store_2addr_b64 v6, v[46:47], v[48:49] offset0:40 offset1:144
	ds_store_b64 v224, v[58:59] offset:6656
	ds_store_b64 v226, v[70:71] offset:9152
	global_wb scope:SCOPE_SE
	s_wait_dscnt 0x0
	s_barrier_signal -1
	s_barrier_wait -1
	global_inv scope:SCOPE_SE
	ds_load_2addr_b64 v[6:9], v0 offset0:112 offset1:164
	ds_load_2addr_b64 v[10:13], v5 offset0:88 offset1:140
	ds_load_2addr_b64 v[14:17], v209 offset1:52
	ds_load_2addr_b64 v[18:21], v209 offset0:104 offset1:156
	ds_load_2addr_b64 v[22:25], v4 offset0:80 offset1:132
	;; [unrolled: 1-line block ×9, first 2 shown]
	global_wb scope:SCOPE_SE
	s_wait_dscnt 0x0
	s_barrier_signal -1
	s_barrier_wait -1
	global_inv scope:SCOPE_SE
	v_mul_f32_e32 v55, v170, v7
	v_mul_f32_e32 v56, v170, v6
	;; [unrolled: 1-line block ×3, first 2 shown]
	s_delay_alu instid0(VALU_DEP_3) | instskip(SKIP_1) | instid1(VALU_DEP_3)
	v_dual_mul_f32 v58, v172, v13 :: v_dual_fmac_f32 v55, v169, v6
	v_mul_f32_e32 v6, v174, v8
	v_dual_fmac_f32 v57, v173, v8 :: v_dual_mul_f32 v8, v176, v10
	v_mul_f32_e32 v60, v182, v27
	v_mul_f32_e32 v62, v180, v29
	s_delay_alu instid0(VALU_DEP_4) | instskip(SKIP_4) | instid1(VALU_DEP_4)
	v_fma_f32 v9, v173, v9, -v6
	v_mul_f32_e32 v6, v172, v12
	v_fma_f32 v59, v175, v11, -v8
	v_dual_mul_f32 v8, v180, v28 :: v_dual_mul_f32 v63, v170, v35
	v_mul_f32_e32 v64, v174, v37
	v_fma_f32 v61, v171, v13, -v6
	v_mul_f32_e32 v6, v182, v26
	s_delay_alu instid0(VALU_DEP_4) | instskip(SKIP_2) | instid1(VALU_DEP_4)
	v_fma_f32 v29, v179, v29, -v8
	v_dual_mul_f32 v8, v174, v36 :: v_dual_mul_f32 v65, v176, v43
	v_mul_f32_e32 v66, v172, v45
	v_fma_f32 v27, v181, v27, -v6
	v_mul_f32_e32 v6, v170, v34
	s_delay_alu instid0(VALU_DEP_4) | instskip(SKIP_2) | instid1(VALU_DEP_4)
	v_fma_f32 v37, v173, v37, -v8
	v_mul_f32_e32 v8, v182, v50
	v_dual_mul_f32 v67, v182, v51 :: v_dual_mul_f32 v68, v180, v53
	v_fma_f32 v35, v169, v35, -v6
	s_delay_alu instid0(VALU_DEP_4) | instskip(SKIP_3) | instid1(VALU_DEP_4)
	v_dual_mul_f32 v6, v176, v42 :: v_dual_sub_f32 v37, v33, v37
	v_fma_f32 v7, v169, v7, -v56
	v_fmac_f32_e32 v60, v181, v26
	v_fmac_f32_e32 v62, v179, v28
	v_fma_f32 v43, v175, v43, -v6
	v_dual_mul_f32 v6, v172, v44 :: v_dual_fmac_f32 v63, v169, v34
	v_fmac_f32_e32 v58, v171, v12
	v_dual_fmac_f32 v64, v173, v36 :: v_dual_fmac_f32 v65, v175, v42
	s_delay_alu instid0(VALU_DEP_3) | instskip(SKIP_4) | instid1(VALU_DEP_4)
	v_fma_f32 v45, v171, v45, -v6
	v_mul_f32_e32 v56, v176, v11
	v_fma_f32 v51, v181, v51, -v8
	v_sub_f32_e32 v6, v14, v55
	v_sub_f32_e32 v7, v15, v7
	v_dual_sub_f32 v45, v41, v45 :: v_dual_fmac_f32 v56, v175, v10
	v_dual_mul_f32 v10, v180, v52 :: v_dual_add_nc_u32 v55, 0x1c00, v209
	v_sub_f32_e32 v8, v16, v57
	v_dual_sub_f32 v9, v17, v9 :: v_dual_fmac_f32 v66, v171, v44
	v_dual_fmac_f32 v67, v181, v50 :: v_dual_fmac_f32 v68, v179, v52
	s_delay_alu instid0(VALU_DEP_4)
	v_fma_f32 v53, v179, v53, -v10
	v_dual_sub_f32 v26, v22, v60 :: v_dual_sub_f32 v27, v23, v27
	v_dual_sub_f32 v28, v24, v62 :: v_dual_sub_f32 v29, v25, v29
	v_sub_f32_e32 v34, v30, v63
	v_sub_f32_e32 v35, v31, v35
	v_fma_f32 v10, v14, 2.0, -v6
	v_fma_f32 v11, v15, 2.0, -v7
	;; [unrolled: 1-line block ×3, first 2 shown]
	v_sub_f32_e32 v14, v18, v56
	v_fma_f32 v13, v17, 2.0, -v9
	v_dual_sub_f32 v15, v19, v59 :: v_dual_sub_f32 v16, v20, v58
	v_dual_sub_f32 v17, v21, v61 :: v_dual_sub_f32 v36, v32, v64
	v_dual_sub_f32 v42, v38, v65 :: v_dual_sub_f32 v43, v39, v43
	v_sub_f32_e32 v44, v40, v66
	v_sub_f32_e32 v50, v46, v67
	v_dual_sub_f32 v51, v47, v51 :: v_dual_sub_f32 v52, v48, v68
	v_sub_f32_e32 v53, v49, v53
	v_fma_f32 v22, v22, 2.0, -v26
	v_fma_f32 v23, v23, 2.0, -v27
	;; [unrolled: 1-line block ×20, first 2 shown]
	ds_store_b64 v209, v[6:7] offset:2496
	ds_store_2addr_b64 v209, v[10:11], v[12:13] offset1:52
	ds_store_2addr_b64 v2, v[8:9], v[14:15] offset0:108 offset1:160
	ds_store_2addr_b64 v209, v[18:19], v[20:21] offset0:104 offset1:156
	;; [unrolled: 1-line block ×10, first 2 shown]
	ds_store_b64 v209, v[52:53] offset:9568
	global_wb scope:SCOPE_SE
	s_wait_dscnt 0x0
	s_barrier_signal -1
	s_barrier_wait -1
	global_inv scope:SCOPE_SE
	ds_load_2addr_b64 v[6:9], v0 offset0:112 offset1:164
	ds_load_2addr_b64 v[10:13], v5 offset0:88 offset1:140
	ds_load_2addr_b64 v[14:17], v209 offset1:52
	ds_load_2addr_b64 v[18:21], v209 offset0:104 offset1:156
	ds_load_2addr_b64 v[22:25], v4 offset0:80 offset1:132
	;; [unrolled: 1-line block ×9, first 2 shown]
	s_wait_dscnt 0xb
	v_mul_f32_e32 v54, v178, v7
	v_dual_mul_f32 v56, v178, v6 :: v_dual_mul_f32 v57, v184, v9
	s_wait_dscnt 0xa
	v_mul_f32_e32 v58, v188, v13
	s_delay_alu instid0(VALU_DEP_3)
	v_fmac_f32_e32 v54, v177, v6
	v_mul_f32_e32 v6, v184, v8
	v_dual_fmac_f32 v57, v183, v8 :: v_dual_mul_f32 v8, v186, v10
	s_wait_dscnt 0x6
	v_mul_f32_e32 v60, v194, v27
	v_mul_f32_e32 v62, v196, v29
	v_fma_f32 v9, v183, v9, -v6
	v_mul_f32_e32 v6, v188, v12
	v_fma_f32 v59, v185, v11, -v8
	s_wait_dscnt 0x4
	v_dual_mul_f32 v8, v196, v28 :: v_dual_mul_f32 v63, v190, v35
	v_fma_f32 v7, v177, v7, -v56
	v_fma_f32 v61, v187, v13, -v6
	v_mul_f32_e32 v6, v194, v26
	s_delay_alu instid0(VALU_DEP_4)
	v_fma_f32 v29, v195, v29, -v8
	v_mul_f32_e32 v8, v192, v36
	v_mul_f32_e32 v56, v186, v11
	;; [unrolled: 1-line block ×3, first 2 shown]
	v_fma_f32 v27, v193, v27, -v6
	s_wait_dscnt 0x2
	v_dual_mul_f32 v6, v190, v34 :: v_dual_mul_f32 v65, v204, v43
	v_fma_f32 v37, v191, v37, -v8
	s_wait_dscnt 0x1
	v_mul_f32_e32 v8, v202, v50
	v_fmac_f32_e32 v56, v185, v10
	v_fma_f32 v35, v189, v35, -v6
	v_mul_f32_e32 v6, v204, v42
	v_dual_mul_f32 v66, v200, v45 :: v_dual_mul_f32 v67, v202, v51
	v_mul_f32_e32 v68, v198, v53
	v_mul_f32_e32 v10, v198, v52
	s_delay_alu instid0(VALU_DEP_4) | instskip(SKIP_4) | instid1(VALU_DEP_4)
	v_fma_f32 v43, v203, v43, -v6
	v_mul_f32_e32 v6, v200, v44
	v_fmac_f32_e32 v58, v187, v12
	v_fma_f32 v51, v201, v51, -v8
	v_dual_sub_f32 v7, v15, v7 :: v_dual_sub_f32 v8, v16, v57
	v_fma_f32 v45, v199, v45, -v6
	v_dual_sub_f32 v6, v14, v54 :: v_dual_sub_f32 v9, v17, v9
	v_fmac_f32_e32 v60, v193, v26
	v_dual_fmac_f32 v62, v195, v28 :: v_dual_fmac_f32 v63, v189, v34
	v_fmac_f32_e32 v64, v191, v36
	v_fmac_f32_e32 v65, v203, v42
	v_dual_fmac_f32 v66, v199, v44 :: v_dual_fmac_f32 v67, v201, v50
	v_fmac_f32_e32 v68, v197, v52
	v_fma_f32 v53, v197, v53, -v10
	v_fma_f32 v10, v14, 2.0, -v6
	v_fma_f32 v11, v15, 2.0, -v7
	v_fma_f32 v12, v16, 2.0, -v8
	v_sub_f32_e32 v14, v18, v56
	v_fma_f32 v13, v17, 2.0, -v9
	v_dual_sub_f32 v15, v19, v59 :: v_dual_sub_f32 v16, v20, v58
	v_dual_sub_f32 v17, v21, v61 :: v_dual_sub_f32 v26, v22, v60
	;; [unrolled: 1-line block ×5, first 2 shown]
	v_sub_f32_e32 v37, v33, v37
	v_dual_sub_f32 v42, v38, v65 :: v_dual_sub_f32 v43, v39, v43
	v_dual_sub_f32 v44, v40, v66 :: v_dual_sub_f32 v45, v41, v45
	s_wait_dscnt 0x0
	v_sub_f32_e32 v50, v46, v67
	v_dual_sub_f32 v51, v47, v51 :: v_dual_sub_f32 v52, v48, v68
	v_sub_f32_e32 v53, v49, v53
	v_fma_f32 v18, v18, 2.0, -v14
	v_fma_f32 v19, v19, 2.0, -v15
	v_fma_f32 v20, v20, 2.0, -v16
	v_fma_f32 v21, v21, 2.0, -v17
	v_fma_f32 v22, v22, 2.0, -v26
	v_fma_f32 v23, v23, 2.0, -v27
	v_fma_f32 v24, v24, 2.0, -v28
	v_fma_f32 v25, v25, 2.0, -v29
	v_fma_f32 v30, v30, 2.0, -v34
	v_fma_f32 v31, v31, 2.0, -v35
	v_fma_f32 v32, v32, 2.0, -v36
	v_fma_f32 v33, v33, 2.0, -v37
	v_fma_f32 v38, v38, 2.0, -v42
	v_fma_f32 v39, v39, 2.0, -v43
	v_fma_f32 v40, v40, 2.0, -v44
	v_fma_f32 v41, v41, 2.0, -v45
	v_fma_f32 v46, v46, 2.0, -v50
	v_fma_f32 v47, v47, 2.0, -v51
	v_fma_f32 v48, v48, 2.0, -v52
	v_fma_f32 v49, v49, 2.0, -v53
	ds_store_b64 v209, v[6:7] offset:4992
	ds_store_2addr_b64 v209, v[10:11], v[12:13] offset1:52
	ds_store_2addr_b64 v0, v[8:9], v[14:15] offset0:164 offset1:216
	ds_store_2addr_b64 v209, v[18:19], v[20:21] offset0:104 offset1:156
	;; [unrolled: 1-line block ×10, first 2 shown]
	ds_store_b64 v209, v[52:53] offset:9568
	global_wb scope:SCOPE_SE
	s_wait_dscnt 0x0
	s_barrier_signal -1
	s_barrier_wait -1
	global_inv scope:SCOPE_SE
	ds_load_2addr_b64 v[6:9], v209 offset1:52
	ds_load_2addr_b64 v[10:13], v0 offset0:112 offset1:164
	v_mad_co_u64_u32 v[28:29], null, s6, v124, 0
	v_mad_co_u64_u32 v[30:31], null, s4, v208, 0
	s_wait_dscnt 0x1
	v_mul_f32_e32 v14, v142, v7
	s_wait_dscnt 0x0
	v_dual_mul_f32 v15, v142, v6 :: v_dual_mul_f32 v16, v144, v11
	v_mul_f32_e32 v24, v140, v9
	s_delay_alu instid0(VALU_DEP_3) | instskip(NEXT) | instid1(VALU_DEP_3)
	v_dual_mul_f32 v25, v140, v8 :: v_dual_fmac_f32 v14, v141, v6
	v_fma_f32 v15, v141, v7, -v15
	s_delay_alu instid0(VALU_DEP_4)
	v_fmac_f32_e32 v16, v143, v10
	v_mul_f32_e32 v10, v144, v10
	v_fmac_f32_e32 v24, v139, v8
	v_cvt_f64_f32_e32 v[6:7], v14
	v_cvt_f64_f32_e32 v[14:15], v15
	;; [unrolled: 1-line block ×3, first 2 shown]
	v_fma_f32 v10, v143, v11, -v10
	s_delay_alu instid0(VALU_DEP_1)
	v_cvt_f64_f32_e32 v[10:11], v10
	s_wait_alu 0xfffe
	v_mul_f64_e32 v[18:19], s[2:3], v[6:7]
	v_mul_f64_e32 v[20:21], s[2:3], v[14:15]
	v_fma_f32 v6, v139, v9, -v25
	v_mul_f64_e32 v[22:23], s[2:3], v[16:17]
	v_cvt_f64_f32_e32 v[24:25], v24
	s_delay_alu instid0(VALU_DEP_3) | instskip(SKIP_2) | instid1(VALU_DEP_1)
	v_cvt_f64_f32_e32 v[26:27], v6
	v_mul_f64_e32 v[10:11], s[2:3], v[10:11]
	v_mov_b32_e32 v6, v29
	v_mad_co_u64_u32 v[32:33], null, s7, v124, v[6:7]
	ds_load_2addr_b64 v[6:9], v209 offset0:104 offset1:156
	ds_load_2addr_b64 v[14:17], v5 offset0:88 offset1:140
	v_mov_b32_e32 v5, v31
	v_mul_f32_e32 v31, v138, v12
	s_movk_i32 s6, 0xee20
	s_mov_b32 s7, -1
	v_mov_b32_e32 v29, v32
	s_wait_alu 0xfffe
	s_mul_u64 s[6:7], s[4:5], s[6:7]
	s_wait_dscnt 0x0
	v_mul_f32_e32 v36, v136, v15
	v_cvt_f32_f64_e32 v18, v[18:19]
	v_cvt_f32_f64_e32 v19, v[20:21]
	v_mad_co_u64_u32 v[20:21], null, s5, v208, v[5:6]
	v_mul_f32_e32 v5, v138, v13
	v_cvt_f32_f64_e32 v21, v[22:23]
	v_fmac_f32_e32 v36, v135, v14
	v_cvt_f32_f64_e32 v22, v[10:11]
	v_mul_f64_e32 v[10:11], s[2:3], v[24:25]
	v_mul_f64_e32 v[23:24], s[2:3], v[26:27]
	v_fmac_f32_e32 v5, v137, v12
	v_fma_f32 v25, v137, v13, -v31
	v_mul_f32_e32 v27, v132, v7
	v_mul_f32_e32 v31, v132, v6
	v_cvt_f64_f32_e32 v[36:37], v36
	v_cvt_f64_f32_e32 v[12:13], v5
	;; [unrolled: 1-line block ×3, first 2 shown]
	v_fmac_f32_e32 v27, v131, v6
	v_fma_f32 v5, v131, v7, -v31
	v_dual_mul_f32 v6, v136, v14 :: v_dual_mul_f32 v7, v130, v9
	v_mov_b32_e32 v31, v20
	s_delay_alu instid0(VALU_DEP_4) | instskip(NEXT) | instid1(VALU_DEP_4)
	v_cvt_f64_f32_e32 v[32:33], v27
	v_cvt_f64_f32_e32 v[34:35], v5
	s_delay_alu instid0(VALU_DEP_4)
	v_fma_f32 v5, v135, v15, -v6
	v_fmac_f32_e32 v7, v129, v8
	v_mul_f32_e32 v6, v130, v8
	v_mul_f32_e32 v8, v134, v17
	;; [unrolled: 1-line block ×3, first 2 shown]
	v_cvt_f64_f32_e32 v[14:15], v5
	v_cvt_f64_f32_e32 v[38:39], v7
	v_fma_f32 v7, v129, v9, -v6
	v_fmac_f32_e32 v8, v133, v16
	v_fma_f32 v9, v133, v17, -v27
	v_lshlrev_b64_e32 v[5:6], 3, v[28:29]
	s_delay_alu instid0(VALU_DEP_4) | instskip(NEXT) | instid1(VALU_DEP_4)
	v_cvt_f64_f32_e32 v[16:17], v7
	v_cvt_f64_f32_e32 v[27:28], v8
	v_lshlrev_b64_e32 v[7:8], 3, v[30:31]
	v_cvt_f64_f32_e32 v[40:41], v9
	v_add_co_u32 v52, vcc_lo, s0, v5
	s_wait_alu 0xfffd
	v_add_co_ci_u32_e32 v53, vcc_lo, s1, v6, vcc_lo
	s_mul_u64 s[0:1], s[4:5], 0x1380
	s_delay_alu instid0(VALU_DEP_2)
	v_add_co_u32 v29, vcc_lo, v52, v7
	ds_load_2addr_b64 v[4:7], v4 offset0:80 offset1:132
	v_cvt_f32_f64_e32 v42, v[10:11]
	v_cvt_f32_f64_e32 v43, v[23:24]
	s_wait_alu 0xfffd
	v_add_co_ci_u32_e32 v30, vcc_lo, v53, v8, vcc_lo
	s_wait_alu 0xfffe
	v_add_co_u32 v23, vcc_lo, v29, s0
	v_mul_f64_e32 v[44:45], s[2:3], v[12:13]
	ds_load_2addr_b64 v[8:11], v3 offset0:64 offset1:116
	s_wait_alu 0xfffd
	v_add_co_ci_u32_e32 v24, vcc_lo, s1, v30, vcc_lo
	global_store_b64 v[29:30], v[18:19], off
	v_mul_f64_e32 v[29:30], s[2:3], v[36:37]
	v_mul_f64_e32 v[18:19], s[2:3], v[25:26]
	global_store_b64 v[23:24], v[21:22], off
	v_mul_f64_e32 v[20:21], s[2:3], v[32:33]
	v_mul_f64_e32 v[25:26], s[2:3], v[34:35]
	s_wait_dscnt 0x1
	v_mul_f32_e32 v12, v128, v4
	v_mul_f32_e32 v22, v128, v5
	v_mul_f64_e32 v[31:32], s[2:3], v[14:15]
	v_mul_f64_e32 v[33:34], s[2:3], v[38:39]
	s_delay_alu instid0(VALU_DEP_4)
	v_fma_f32 v37, v127, v5, -v12
	ds_load_2addr_b64 v[12:15], v2 offset0:56 offset1:108
	v_mul_f64_e32 v[16:17], s[2:3], v[16:17]
	v_mul_f64_e32 v[27:28], s[2:3], v[27:28]
	v_fmac_f32_e32 v22, v127, v4
	v_add_co_u32 v4, vcc_lo, v23, s6
	s_wait_alu 0xfffd
	v_add_co_ci_u32_e32 v5, vcc_lo, s7, v24, vcc_lo
	s_wait_dscnt 0x1
	v_mul_f32_e32 v24, v119, v9
	v_mul_f64_e32 v[35:36], s[2:3], v[40:41]
	v_mul_f32_e32 v40, v121, v7
	v_mul_f32_e32 v41, v121, v6
	;; [unrolled: 1-line block ×3, first 2 shown]
	v_fmac_f32_e32 v24, v118, v8
	global_store_b64 v[4:5], v[42:43], off
	v_fmac_f32_e32 v40, v120, v6
	v_fma_f32 v43, v120, v7, -v41
	v_fma_f32 v8, v118, v9, -v39
	v_cvt_f64_f32_e32 v[6:7], v24
	v_mul_f32_e32 v24, v126, v11
	v_cvt_f32_f64_e32 v39, v[44:45]
	s_wait_dscnt 0x0
	v_dual_mul_f32 v45, v126, v10 :: v_dual_mul_f32 v46, v123, v13
	s_delay_alu instid0(VALU_DEP_3) | instskip(SKIP_1) | instid1(VALU_DEP_3)
	v_dual_mul_f32 v47, v123, v12 :: v_dual_fmac_f32 v24, v125, v10
	v_cvt_f64_f32_e32 v[8:9], v8
	v_fma_f32 v11, v125, v11, -v45
	s_delay_alu instid0(VALU_DEP_4) | instskip(NEXT) | instid1(VALU_DEP_4)
	v_fmac_f32_e32 v46, v122, v12
	v_fma_f32 v45, v122, v13, -v47
	v_cvt_f64_f32_e32 v[12:13], v24
	v_cvt_f32_f64_e32 v24, v[29:30]
	v_cvt_f64_f32_e32 v[22:23], v22
	v_cvt_f64_f32_e32 v[37:38], v37
	;; [unrolled: 1-line block ×3, first 2 shown]
	v_cvt_f32_f64_e32 v40, v[18:19]
	v_cvt_f64_f32_e32 v[18:19], v11
	v_cvt_f32_f64_e32 v10, v[20:21]
	v_cvt_f32_f64_e32 v11, v[25:26]
	;; [unrolled: 1-line block ×5, first 2 shown]
	scratch_load_b32 v28, off, off th:TH_LOAD_LU ; 4-byte Folded Reload
	v_cvt_f64_f32_e32 v[43:44], v43
	v_cvt_f64_f32_e32 v[20:21], v46
	;; [unrolled: 1-line block ×3, first 2 shown]
	v_cvt_f32_f64_e32 v29, v[33:34]
	v_add_co_u32 v4, vcc_lo, v4, s0
	v_cvt_f32_f64_e32 v17, v[35:36]
	s_wait_alu 0xfffd
	v_add_co_ci_u32_e32 v5, vcc_lo, s1, v5, vcc_lo
	s_delay_alu instid0(VALU_DEP_3) | instskip(SKIP_1) | instid1(VALU_DEP_2)
	v_add_co_u32 v33, vcc_lo, v4, s6
	s_wait_alu 0xfffd
	v_add_co_ci_u32_e32 v34, vcc_lo, s7, v5, vcc_lo
	v_mul_f64_e32 v[35:36], s[2:3], v[6:7]
	v_mul_f64_e32 v[7:8], s[2:3], v[8:9]
	;; [unrolled: 1-line block ×5, first 2 shown]
	v_add_co_u32 v37, vcc_lo, v33, s0
	s_wait_alu 0xfffd
	v_add_co_ci_u32_e32 v38, vcc_lo, s1, v34, vcc_lo
	v_mul_f64_e32 v[18:19], s[2:3], v[18:19]
	s_delay_alu instid0(VALU_DEP_3) | instskip(SKIP_1) | instid1(VALU_DEP_3)
	v_add_co_u32 v47, vcc_lo, v37, s6
	s_wait_alu 0xfffd
	v_add_co_ci_u32_e32 v48, vcc_lo, s7, v38, vcc_lo
	v_mul_f64_e32 v[41:42], s[2:3], v[41:42]
	v_mul_f64_e32 v[43:44], s[2:3], v[43:44]
	;; [unrolled: 1-line block ×4, first 2 shown]
	v_cvt_f32_f64_e32 v22, v[22:23]
	v_cvt_f32_f64_e32 v23, v[26:27]
	s_delay_alu instid0(VALU_DEP_4) | instskip(NEXT) | instid1(VALU_DEP_4)
	v_cvt_f32_f64_e32 v20, v[20:21]
	v_cvt_f32_f64_e32 v21, v[45:46]
	s_wait_loadcnt 0x0
	v_mad_co_u64_u32 v[31:32], null, s4, v28, 0
	s_delay_alu instid0(VALU_DEP_1) | instskip(NEXT) | instid1(VALU_DEP_1)
	v_mov_b32_e32 v6, v32
	v_mad_co_u64_u32 v[49:50], null, s5, v28, v[6:7]
	v_add_co_u32 v50, vcc_lo, v47, s0
	s_wait_alu 0xfffd
	v_add_co_ci_u32_e32 v51, vcc_lo, s1, v48, vcc_lo
	s_clause 0x1
	global_store_b64 v[4:5], v[39:40], off
	global_store_b64 v[33:34], v[10:11], off
	;; [unrolled: 1-line block ×5, first 2 shown]
	ds_load_2addr_b64 v[3:6], v3 offset0:168 offset1:220
	v_add_co_u32 v24, vcc_lo, v50, s6
	v_mov_b32_e32 v32, v49
	s_wait_alu 0xfffd
	v_add_co_ci_u32_e32 v25, vcc_lo, s7, v51, vcc_lo
	v_cvt_f32_f64_e32 v29, v[7:8]
	v_cvt_f32_f64_e32 v28, v[35:36]
	v_lshlrev_b64_e32 v[9:10], 3, v[31:32]
	s_delay_alu instid0(VALU_DEP_4)
	v_mad_co_u64_u32 v[26:27], null, 0x1a0, s4, v[24:25]
	v_cvt_f32_f64_e32 v36, v[18:19]
	ds_load_2addr_b64 v[16:19], v1 offset0:16 offset1:68
	v_cvt_f32_f64_e32 v32, v[41:42]
	v_add_co_u32 v30, vcc_lo, v52, v9
	s_wait_alu 0xfffd
	v_add_co_ci_u32_e32 v31, vcc_lo, v53, v10, vcc_lo
	v_mov_b32_e32 v11, v27
	ds_load_2addr_b64 v[7:10], v2 offset0:160 offset1:212
	s_wait_dscnt 0x2
	v_mul_f32_e32 v2, v117, v4
	v_cvt_f32_f64_e32 v33, v[43:44]
	v_mad_co_u64_u32 v[34:35], null, 0x1a0, s5, v[11:12]
	v_mul_f32_e32 v11, v117, v3
	s_delay_alu instid0(VALU_DEP_4) | instskip(SKIP_1) | instid1(VALU_DEP_3)
	v_fmac_f32_e32 v2, v116, v3
	v_cvt_f32_f64_e32 v35, v[12:13]
	v_fma_f32 v3, v116, v4, -v11
	s_delay_alu instid0(VALU_DEP_3)
	v_cvt_f64_f32_e32 v[37:38], v2
	v_mul_f32_e32 v2, v107, v15
	v_mul_f32_e32 v4, v115, v6
	;; [unrolled: 1-line block ×3, first 2 shown]
	v_cvt_f64_f32_e32 v[39:40], v3
	v_mul_f32_e32 v3, v107, v14
	v_fmac_f32_e32 v2, v106, v14
	v_fmac_f32_e32 v4, v114, v5
	s_wait_dscnt 0x0
	v_mul_f32_e32 v12, v97, v8
	v_fma_f32 v5, v114, v6, -v11
	v_fma_f32 v3, v106, v15, -v3
	v_cvt_f64_f32_e32 v[41:42], v2
	v_cvt_f64_f32_e32 v[45:46], v4
	v_fmac_f32_e32 v12, v96, v7
	v_cvt_f64_f32_e32 v[47:48], v5
	v_cvt_f64_f32_e32 v[43:44], v3
	ds_load_2addr_b64 v[2:5], v0 offset0:8 offset1:60
	v_mul_f32_e32 v0, v97, v7
	v_cvt_f64_f32_e32 v[49:50], v12
	ds_load_2addr_b64 v[11:14], v1 offset0:120 offset1:172
	v_mul_f32_e32 v7, v101, v9
	v_mul_f32_e32 v15, v101, v10
	;; [unrolled: 1-line block ×4, first 2 shown]
	v_fma_f32 v0, v96, v8, -v0
	v_fma_f32 v10, v100, v10, -v7
	v_fmac_f32_e32 v15, v100, v9
	v_fma_f32 v8, v108, v17, -v1
	v_dual_mul_f32 v17, v105, v18 :: v_dual_fmac_f32 v6, v108, v16
	s_delay_alu instid0(VALU_DEP_4) | instskip(SKIP_2) | instid1(VALU_DEP_4)
	v_cvt_f64_f32_e32 v[51:52], v10
	v_mul_f32_e32 v10, v105, v19
	v_cvt_f64_f32_e32 v[0:1], v0
	v_fma_f32 v17, v104, v19, -v17
	v_cvt_f64_f32_e32 v[6:7], v6
	v_cvt_f64_f32_e32 v[8:9], v8
	s_wait_dscnt 0x1
	v_mul_f32_e32 v53, v103, v2
	v_dual_mul_f32 v27, v103, v3 :: v_dual_fmac_f32 v10, v104, v18
	s_wait_dscnt 0x0
	v_mul_f32_e32 v57, v99, v12
	v_mul_f32_e32 v59, v113, v13
	v_fma_f32 v19, v102, v3, -v53
	v_fmac_f32_e32 v27, v102, v2
	v_cvt_f64_f32_e32 v[2:3], v10
	v_mul_f32_e32 v10, v99, v11
	v_fmac_f32_e32 v57, v98, v11
	v_cvt_f64_f32_e32 v[55:56], v19
	v_mul_f32_e32 v11, v111, v5
	v_mul_f32_e32 v19, v111, v4
	v_cvt_f64_f32_e32 v[53:54], v27
	v_mul_f32_e32 v27, v113, v14
	v_cvt_f64_f32_e32 v[15:16], v15
	v_fma_f32 v10, v98, v12, -v10
	v_fmac_f32_e32 v11, v110, v4
	v_fma_f32 v12, v110, v5, -v19
	v_fmac_f32_e32 v27, v112, v13
	v_fma_f32 v14, v112, v14, -v59
	v_cvt_f64_f32_e32 v[17:18], v17
	v_cvt_f64_f32_e32 v[57:58], v57
	;; [unrolled: 1-line block ×6, first 2 shown]
	v_mov_b32_e32 v27, v34
	v_cvt_f64_f32_e32 v[61:62], v14
	v_mul_f64_e32 v[37:38], s[2:3], v[37:38]
	v_mul_f64_e32 v[39:40], s[2:3], v[39:40]
	global_store_b64 v[24:25], v[22:23], off
	global_store_b64 v[30:31], v[28:29], off
	v_mul_f64_e32 v[22:23], s[2:3], v[41:42]
	v_mul_f64_e32 v[24:25], s[2:3], v[43:44]
	v_add_co_u32 v28, vcc_lo, v26, s0
	v_mul_f64_e32 v[30:31], s[2:3], v[45:46]
	v_mul_f64_e32 v[41:42], s[2:3], v[47:48]
	v_mul_f64_e32 v[45:46], s[2:3], v[49:50]
	v_mul_f64_e32 v[0:1], s[2:3], v[0:1]
	s_wait_alu 0xfffd
	v_add_co_ci_u32_e32 v29, vcc_lo, s1, v27, vcc_lo
	v_add_co_u32 v43, vcc_lo, v28, s6
	v_mul_f64_e32 v[6:7], s[2:3], v[6:7]
	v_mul_f64_e32 v[8:9], s[2:3], v[8:9]
	s_wait_alu 0xfffd
	v_add_co_ci_u32_e32 v44, vcc_lo, s7, v29, vcc_lo
	global_store_b64 v[26:27], v[32:33], off
	global_store_b64 v[28:29], v[35:36], off
	;; [unrolled: 1-line block ×3, first 2 shown]
	v_mul_f64_e32 v[19:20], s[2:3], v[51:52]
	v_mul_f64_e32 v[2:3], s[2:3], v[2:3]
	;; [unrolled: 1-line block ×12, first 2 shown]
	v_cvt_f32_f64_e32 v36, v[37:38]
	v_cvt_f32_f64_e32 v37, v[39:40]
	v_add_co_u32 v38, vcc_lo, v43, s0
	v_cvt_f32_f64_e32 v21, v[22:23]
	v_cvt_f32_f64_e32 v22, v[24:25]
	s_wait_alu 0xfffd
	v_add_co_ci_u32_e32 v39, vcc_lo, s1, v44, vcc_lo
	v_cvt_f32_f64_e32 v30, v[30:31]
	v_cvt_f32_f64_e32 v31, v[41:42]
	;; [unrolled: 1-line block ×4, first 2 shown]
	v_add_co_u32 v23, vcc_lo, v38, s6
	s_wait_alu 0xfffd
	v_add_co_ci_u32_e32 v24, vcc_lo, s7, v39, vcc_lo
	v_cvt_f32_f64_e32 v0, v[6:7]
	v_cvt_f32_f64_e32 v1, v[8:9]
	v_add_co_u32 v40, vcc_lo, v23, s0
	s_wait_alu 0xfffd
	v_add_co_ci_u32_e32 v41, vcc_lo, s1, v24, vcc_lo
	v_cvt_f32_f64_e32 v9, v[19:20]
	s_delay_alu instid0(VALU_DEP_3)
	v_add_co_u32 v6, vcc_lo, v40, s6
	v_cvt_f32_f64_e32 v8, v[14:15]
	v_cvt_f32_f64_e32 v2, v[2:3]
	;; [unrolled: 1-line block ×4, first 2 shown]
	s_wait_alu 0xfffd
	v_add_co_ci_u32_e32 v7, vcc_lo, s7, v41, vcc_lo
	v_cvt_f32_f64_e32 v3, v[16:17]
	v_cvt_f32_f64_e32 v16, v[32:33]
	;; [unrolled: 1-line block ×7, first 2 shown]
	v_add_co_u32 v12, vcc_lo, v6, s0
	s_wait_alu 0xfffd
	v_add_co_ci_u32_e32 v13, vcc_lo, s1, v7, vcc_lo
	global_store_b64 v[38:39], v[36:37], off
	v_add_co_u32 v18, vcc_lo, v12, s6
	s_wait_alu 0xfffd
	v_add_co_ci_u32_e32 v19, vcc_lo, s7, v13, vcc_lo
	global_store_b64 v[23:24], v[21:22], off
	;; [unrolled: 4-line block ×7, first 2 shown]
	global_store_b64 v[22:23], v[14:15], off
	global_store_b64 v[6:7], v[16:17], off
	;; [unrolled: 1-line block ×4, first 2 shown]
.LBB0_10:
	s_nop 0
	s_sendmsg sendmsg(MSG_DEALLOC_VGPRS)
	s_endpgm
	.section	.rodata,"a",@progbits
	.p2align	6, 0x0
	.amdhsa_kernel bluestein_single_fwd_len1248_dim1_sp_op_CI_CI
		.amdhsa_group_segment_fixed_size 9984
		.amdhsa_private_segment_fixed_size 44
		.amdhsa_kernarg_size 104
		.amdhsa_user_sgpr_count 2
		.amdhsa_user_sgpr_dispatch_ptr 0
		.amdhsa_user_sgpr_queue_ptr 0
		.amdhsa_user_sgpr_kernarg_segment_ptr 1
		.amdhsa_user_sgpr_dispatch_id 0
		.amdhsa_user_sgpr_private_segment_size 0
		.amdhsa_wavefront_size32 1
		.amdhsa_uses_dynamic_stack 0
		.amdhsa_enable_private_segment 1
		.amdhsa_system_sgpr_workgroup_id_x 1
		.amdhsa_system_sgpr_workgroup_id_y 0
		.amdhsa_system_sgpr_workgroup_id_z 0
		.amdhsa_system_sgpr_workgroup_info 0
		.amdhsa_system_vgpr_workitem_id 0
		.amdhsa_next_free_vgpr 256
		.amdhsa_next_free_sgpr 20
		.amdhsa_reserve_vcc 1
		.amdhsa_float_round_mode_32 0
		.amdhsa_float_round_mode_16_64 0
		.amdhsa_float_denorm_mode_32 3
		.amdhsa_float_denorm_mode_16_64 3
		.amdhsa_fp16_overflow 0
		.amdhsa_workgroup_processor_mode 1
		.amdhsa_memory_ordered 1
		.amdhsa_forward_progress 0
		.amdhsa_round_robin_scheduling 0
		.amdhsa_exception_fp_ieee_invalid_op 0
		.amdhsa_exception_fp_denorm_src 0
		.amdhsa_exception_fp_ieee_div_zero 0
		.amdhsa_exception_fp_ieee_overflow 0
		.amdhsa_exception_fp_ieee_underflow 0
		.amdhsa_exception_fp_ieee_inexact 0
		.amdhsa_exception_int_div_zero 0
	.end_amdhsa_kernel
	.text
.Lfunc_end0:
	.size	bluestein_single_fwd_len1248_dim1_sp_op_CI_CI, .Lfunc_end0-bluestein_single_fwd_len1248_dim1_sp_op_CI_CI
                                        ; -- End function
	.section	.AMDGPU.csdata,"",@progbits
; Kernel info:
; codeLenInByte = 32408
; NumSgprs: 22
; NumVgprs: 256
; ScratchSize: 44
; MemoryBound: 0
; FloatMode: 240
; IeeeMode: 1
; LDSByteSize: 9984 bytes/workgroup (compile time only)
; SGPRBlocks: 2
; VGPRBlocks: 31
; NumSGPRsForWavesPerEU: 22
; NumVGPRsForWavesPerEU: 256
; Occupancy: 5
; WaveLimiterHint : 1
; COMPUTE_PGM_RSRC2:SCRATCH_EN: 1
; COMPUTE_PGM_RSRC2:USER_SGPR: 2
; COMPUTE_PGM_RSRC2:TRAP_HANDLER: 0
; COMPUTE_PGM_RSRC2:TGID_X_EN: 1
; COMPUTE_PGM_RSRC2:TGID_Y_EN: 0
; COMPUTE_PGM_RSRC2:TGID_Z_EN: 0
; COMPUTE_PGM_RSRC2:TIDIG_COMP_CNT: 0
	.text
	.p2alignl 7, 3214868480
	.fill 96, 4, 3214868480
	.type	__hip_cuid_6641973019bae3ee,@object ; @__hip_cuid_6641973019bae3ee
	.section	.bss,"aw",@nobits
	.globl	__hip_cuid_6641973019bae3ee
__hip_cuid_6641973019bae3ee:
	.byte	0                               ; 0x0
	.size	__hip_cuid_6641973019bae3ee, 1

	.ident	"AMD clang version 19.0.0git (https://github.com/RadeonOpenCompute/llvm-project roc-6.4.0 25133 c7fe45cf4b819c5991fe208aaa96edf142730f1d)"
	.section	".note.GNU-stack","",@progbits
	.addrsig
	.addrsig_sym __hip_cuid_6641973019bae3ee
	.amdgpu_metadata
---
amdhsa.kernels:
  - .args:
      - .actual_access:  read_only
        .address_space:  global
        .offset:         0
        .size:           8
        .value_kind:     global_buffer
      - .actual_access:  read_only
        .address_space:  global
        .offset:         8
        .size:           8
        .value_kind:     global_buffer
      - .actual_access:  read_only
        .address_space:  global
        .offset:         16
        .size:           8
        .value_kind:     global_buffer
      - .actual_access:  read_only
        .address_space:  global
        .offset:         24
        .size:           8
        .value_kind:     global_buffer
      - .actual_access:  read_only
        .address_space:  global
        .offset:         32
        .size:           8
        .value_kind:     global_buffer
      - .offset:         40
        .size:           8
        .value_kind:     by_value
      - .address_space:  global
        .offset:         48
        .size:           8
        .value_kind:     global_buffer
      - .address_space:  global
        .offset:         56
        .size:           8
        .value_kind:     global_buffer
      - .address_space:  global
        .offset:         64
        .size:           8
        .value_kind:     global_buffer
      - .address_space:  global
        .offset:         72
        .size:           8
        .value_kind:     global_buffer
      - .offset:         80
        .size:           4
        .value_kind:     by_value
      - .address_space:  global
        .offset:         88
        .size:           8
        .value_kind:     global_buffer
      - .address_space:  global
        .offset:         96
        .size:           8
        .value_kind:     global_buffer
    .group_segment_fixed_size: 9984
    .kernarg_segment_align: 8
    .kernarg_segment_size: 104
    .language:       OpenCL C
    .language_version:
      - 2
      - 0
    .max_flat_workgroup_size: 52
    .name:           bluestein_single_fwd_len1248_dim1_sp_op_CI_CI
    .private_segment_fixed_size: 44
    .sgpr_count:     22
    .sgpr_spill_count: 0
    .symbol:         bluestein_single_fwd_len1248_dim1_sp_op_CI_CI.kd
    .uniform_work_group_size: 1
    .uses_dynamic_stack: false
    .vgpr_count:     256
    .vgpr_spill_count: 10
    .wavefront_size: 32
    .workgroup_processor_mode: 1
amdhsa.target:   amdgcn-amd-amdhsa--gfx1201
amdhsa.version:
  - 1
  - 2
...

	.end_amdgpu_metadata
